;; amdgpu-corpus repo=ROCm/rocFFT kind=compiled arch=gfx1030 opt=O3
	.text
	.amdgcn_target "amdgcn-amd-amdhsa--gfx1030"
	.amdhsa_code_object_version 6
	.protected	bluestein_single_back_len3750_dim1_half_op_CI_CI ; -- Begin function bluestein_single_back_len3750_dim1_half_op_CI_CI
	.globl	bluestein_single_back_len3750_dim1_half_op_CI_CI
	.p2align	8
	.type	bluestein_single_back_len3750_dim1_half_op_CI_CI,@function
bluestein_single_back_len3750_dim1_half_op_CI_CI: ; @bluestein_single_back_len3750_dim1_half_op_CI_CI
; %bb.0:
	s_load_dwordx4 s[16:19], s[4:5], 0x28
	v_mul_u32_u24_e32 v1, 0x20d, v0
	s_mov_b64 s[22:23], s[2:3]
	s_mov_b64 s[20:21], s[0:1]
	v_mov_b32_e32 v3, 0
	s_add_u32 s20, s20, s7
	v_lshrrev_b32_e32 v1, 16, v1
	s_addc_u32 s21, s21, 0
	s_mov_b32 s0, exec_lo
	v_add_nc_u32_e32 v2, s6, v1
	s_waitcnt lgkmcnt(0)
	v_cmpx_gt_u64_e64 s[16:17], v[2:3]
	s_cbranch_execz .LBB0_2
; %bb.1:
	s_clause 0x1
	s_load_dwordx4 s[8:11], s[4:5], 0x18
	s_load_dwordx4 s[0:3], s[4:5], 0x0
	v_mul_lo_u16 v1, 0x7d, v1
	v_mov_b32_e32 v97, 2
	v_sub_nc_u16 v126, v0, v1
	v_and_b32_e32 v138, 0xffff, v126
	v_lshlrev_b32_e32 v144, 2, v138
	v_add_co_u32 v118, null, 0x7d, v138
	s_waitcnt lgkmcnt(0)
	s_load_dwordx4 s[12:15], s[8:9], 0x0
	v_add_co_u32 v77, null, 0xfa, v138
	v_add_co_u32 v149, s6, s0, v144
	v_add_co_ci_u32_e64 v150, null, s1, 0, s6
	global_load_dword v142, v144, s[0:1]
	v_add_nc_u32_e32 v52, 0x1400, v144
	v_add_nc_u32_e32 v50, 0x2800, v144
	;; [unrolled: 1-line block ×12, first 2 shown]
	s_waitcnt lgkmcnt(0)
	v_mad_u64_u32 v[4:5], null, s14, v2, 0
	v_mad_u64_u32 v[6:7], null, s12, v138, 0
	s_mul_i32 s7, s13, 0x1388
	s_mul_hi_u32 s8, s12, 0x1388
	s_mul_i32 s6, s12, 0x1388
	s_add_i32 s7, s8, s7
	v_mov_b32_e32 v0, v5
	s_mul_i32 s9, s13, 0xffffdae4
	v_mov_b32_e32 v1, v7
	s_mul_i32 s8, s12, 0xffffdae4
	v_add_nc_u32_e32 v167, 0x1a00, v144
	v_add_nc_u32_e32 v120, 0x2e00, v144
	;; [unrolled: 1-line block ×3, first 2 shown]
	v_mad_u64_u32 v[7:8], null, s15, v2, v[0:1]
	v_mad_u64_u32 v[8:9], null, s13, v138, v[1:2]
	buffer_store_dword v2, off, s[20:23], 0 offset:48 ; 4-byte Folded Spill
	buffer_store_dword v3, off, s[20:23], 0 offset:52 ; 4-byte Folded Spill
	v_add_co_u32 v2, vcc_lo, 0x1000, v149
	v_add_co_ci_u32_e32 v3, vcc_lo, 0, v150, vcc_lo
	v_mov_b32_e32 v5, v7
	v_mov_b32_e32 v7, v8
	v_add_co_u32 v0, vcc_lo, 0x2000, v149
	v_add_co_ci_u32_e32 v1, vcc_lo, 0, v150, vcc_lo
	v_lshlrev_b64 v[4:5], 2, v[4:5]
	v_lshlrev_b64 v[6:7], 2, v[6:7]
	global_load_dword v141, v[2:3], off offset:904
	s_mul_hi_u32 s13, s12, 0xffffdae4
	v_add_nc_u32_e32 v168, 0x3200, v144
	s_sub_i32 s12, s13, s12
	v_add_co_u32 v4, vcc_lo, s18, v4
	v_add_co_ci_u32_e32 v5, vcc_lo, s19, v5, vcc_lo
	s_add_i32 s9, s12, s9
	v_add_co_u32 v4, vcc_lo, v4, v6
	v_add_co_ci_u32_e32 v5, vcc_lo, v5, v7, vcc_lo
	v_add_nc_u32_e32 v146, 0x3600, v144
	v_add_co_u32 v8, vcc_lo, v4, s6
	v_add_co_ci_u32_e32 v9, vcc_lo, s7, v5, vcc_lo
	s_clause 0x1
	global_load_dword v7, v[4:5], off
	global_load_dword v6, v[8:9], off
	v_add_co_u32 v4, vcc_lo, v8, s6
	v_add_co_ci_u32_e32 v5, vcc_lo, s7, v9, vcc_lo
	v_add_co_u32 v122, null, 0x177, v138
	v_add_co_u32 v8, vcc_lo, v4, s8
	v_add_co_ci_u32_e32 v9, vcc_lo, s9, v5, vcc_lo
	global_load_dword v5, v[4:5], off
	s_clause 0x1
	global_load_dword v140, v144, s[0:1] offset:500
	global_load_dword v143, v[0:1], off offset:1808
	global_load_dword v4, v[8:9], off
	v_add_co_u32 v8, vcc_lo, v8, s6
	v_add_co_ci_u32_e32 v9, vcc_lo, s7, v9, vcc_lo
	global_load_dword v136, v[2:3], off offset:1404
	v_add_co_u32 v10, vcc_lo, v8, s6
	v_add_co_ci_u32_e32 v11, vcc_lo, s7, v9, vcc_lo
	v_add_co_u32 v17, vcc_lo, 0x2800, v149
	global_load_dword v15, v[8:9], off
	v_add_co_ci_u32_e32 v18, vcc_lo, 0, v150, vcc_lo
	v_add_co_u32 v8, vcc_lo, v10, s8
	v_add_co_ci_u32_e32 v9, vcc_lo, s9, v11, vcc_lo
	global_load_dword v14, v[10:11], off
	global_load_dword v134, v[17:18], off offset:260
	v_add_co_u32 v19, vcc_lo, v8, s6
	v_add_co_ci_u32_e32 v20, vcc_lo, s7, v9, vcc_lo
	global_load_dword v133, v144, s[0:1] offset:1000
	global_load_dword v11, v[8:9], off
	global_load_dword v132, v[2:3], off offset:1904
	global_load_dword v13, v[19:20], off
	v_add_co_u32 v8, vcc_lo, v19, s6
	v_add_co_ci_u32_e32 v9, vcc_lo, s7, v20, vcc_lo
	s_clause 0x1
	global_load_dword v129, v144, s[0:1] offset:1500
	global_load_dword v131, v[17:18], off offset:760
	global_load_dword v12, v[8:9], off
	v_add_co_u32 v8, vcc_lo, v8, s8
	v_add_co_ci_u32_e32 v9, vcc_lo, s9, v9, vcc_lo
	v_add_co_u32 v19, vcc_lo, 0x1800, v149
	v_add_co_ci_u32_e32 v20, vcc_lo, 0, v150, vcc_lo
	global_load_dword v10, v[8:9], off
	v_add_co_u32 v8, vcc_lo, v8, s6
	v_add_co_ci_u32_e32 v9, vcc_lo, s7, v9, vcc_lo
	global_load_dword v130, v[19:20], off offset:356
	v_add_co_u32 v21, vcc_lo, v8, s6
	v_add_co_ci_u32_e32 v22, vcc_lo, s7, v9, vcc_lo
	global_load_dword v9, v[8:9], off
	global_load_dword v145, v[17:18], off offset:1260
	v_add_co_u32 v23, vcc_lo, v21, s8
	v_add_co_ci_u32_e32 v24, vcc_lo, s9, v22, vcc_lo
	global_load_dword v8, v[21:22], off
	v_add_co_u32 v21, vcc_lo, v23, s6
	v_add_co_ci_u32_e32 v22, vcc_lo, s7, v24, vcc_lo
	s_clause 0x1
	global_load_dword v148, v144, s[0:1] offset:2000
	global_load_dword v164, v[19:20], off offset:856
	global_load_dword v16, v[23:24], off
	global_load_dword v29, v[21:22], off
	v_add_co_u32 v21, vcc_lo, v21, s6
	v_add_co_ci_u32_e32 v22, vcc_lo, s7, v22, vcc_lo
	v_add_co_u32 v23, vcc_lo, 0x800, v149
	v_add_co_ci_u32_e32 v24, vcc_lo, 0, v150, vcc_lo
	;; [unrolled: 2-line block ×4, first 2 shown]
	global_load_dword v169, v[17:18], off offset:1760
	global_load_dword v30, v[21:22], off
	global_load_dword v53, v[19:20], off offset:1356
	global_load_dword v31, v[25:26], off
	v_add_co_u32 v17, vcc_lo, v25, s6
	v_add_co_ci_u32_e32 v18, vcc_lo, s7, v26, vcc_lo
	global_load_dword v54, v[23:24], off offset:452
	v_add_co_u32 v21, vcc_lo, v17, s6
	v_add_co_ci_u32_e32 v22, vcc_lo, s7, v18, vcc_lo
	global_load_dword v25, v[17:18], off
	global_load_dword v48, v[27:28], off offset:212
	v_add_co_u32 v17, vcc_lo, v21, s8
	v_add_co_ci_u32_e32 v18, vcc_lo, s9, v22, vcc_lo
	global_load_dword v26, v[21:22], off
	v_add_co_u32 v21, vcc_lo, v17, s6
	v_add_co_ci_u32_e32 v22, vcc_lo, s7, v18, vcc_lo
	s_clause 0x1
	global_load_dword v46, v[19:20], off offset:1856
	global_load_dword v47, v[23:24], off offset:952
	global_load_dword v32, v[17:18], off
	global_load_dword v33, v[21:22], off
	v_add_co_u32 v17, vcc_lo, v21, s6
	v_add_co_ci_u32_e32 v18, vcc_lo, s7, v22, vcc_lo
	global_load_dword v45, v[27:28], off offset:712
	v_add_co_u32 v19, vcc_lo, v17, s8
	v_add_co_ci_u32_e32 v20, vcc_lo, s9, v18, vcc_lo
	global_load_dword v21, v[17:18], off
	s_clause 0x2
	global_load_dword v44, v[23:24], off offset:1452
	global_load_dword v43, v[0:1], off offset:308
	;; [unrolled: 1-line block ×3, first 2 shown]
	global_load_dword v22, v[19:20], off
	v_add_co_u32 v17, vcc_lo, v19, s6
	v_add_co_ci_u32_e32 v18, vcc_lo, s7, v20, vcc_lo
	global_load_dword v41, v[23:24], off offset:1952
	v_add_co_u32 v19, vcc_lo, v17, s6
	v_add_co_ci_u32_e32 v20, vcc_lo, s7, v18, vcc_lo
	global_load_dword v23, v[17:18], off
	v_add_co_u32 v17, vcc_lo, v19, s8
	v_add_co_ci_u32_e32 v18, vcc_lo, s9, v20, vcc_lo
	global_load_dword v24, v[19:20], off
	s_clause 0x1
	global_load_dword v42, v[27:28], off offset:1212
	global_load_dword v39, v[27:28], off offset:1712
	v_add_co_u32 v19, vcc_lo, v17, s6
	v_add_co_ci_u32_e32 v20, vcc_lo, s7, v18, vcc_lo
	global_load_dword v27, v[17:18], off
	v_add_co_u32 v17, vcc_lo, v19, s6
	v_add_co_ci_u32_e32 v18, vcc_lo, s7, v20, vcc_lo
	global_load_dword v19, v[19:20], off
	global_load_dword v38, v[2:3], off offset:404
	v_add_co_u32 v2, vcc_lo, v17, s8
	v_add_co_ci_u32_e32 v3, vcc_lo, s9, v18, vcc_lo
	global_load_dword v20, v[17:18], off
	v_add_co_u32 v17, vcc_lo, v2, s6
	v_add_co_ci_u32_e32 v18, vcc_lo, s7, v3, vcc_lo
	global_load_dword v28, v[2:3], off
	v_add_co_u32 v2, vcc_lo, v17, s6
	v_add_co_ci_u32_e32 v3, vcc_lo, s7, v18, vcc_lo
	v_add_co_u32 v152, vcc_lo, 0x3800, v149
	global_load_dword v17, v[17:18], off
	v_add_co_ci_u32_e32 v153, vcc_lo, 0, v150, vcc_lo
	global_load_dword v2, v[2:3], off
	s_clause 0x1
	global_load_dword v37, v[0:1], off offset:1308
	global_load_dword v36, v[152:153], off offset:164
	s_load_dwordx4 s[8:11], s[10:11], 0x0
	v_add_co_u32 v121, null, 0x1f4, v138
	v_add_co_u32 v119, null, 0x271, v138
	v_cmp_gt_u16_e32 vcc_lo, 0x4b, v126
	s_mov_b32 s6, 0x9cbd821e
	s_mov_b32 s7, 0x3f3179ec
	s_waitcnt vmcnt(57)
	v_lshrrev_b32_e32 v0, 16, v7
	v_mul_f16_sdwa v1, v142, v7 dst_sel:DWORD dst_unused:UNUSED_PAD src0_sel:WORD_1 src1_sel:DWORD
	s_waitcnt vmcnt(56)
	v_lshrrev_b32_e32 v3, 16, v6
	v_mul_f16_sdwa v34, v141, v6 dst_sel:DWORD dst_unused:UNUSED_PAD src0_sel:WORD_1 src1_sel:DWORD
	v_mul_f16_sdwa v18, v142, v0 dst_sel:DWORD dst_unused:UNUSED_PAD src0_sel:WORD_1 src1_sel:DWORD
	v_fma_f16 v0, v142, v0, -v1
	v_mul_f16_sdwa v1, v141, v3 dst_sel:DWORD dst_unused:UNUSED_PAD src0_sel:WORD_1 src1_sel:DWORD
	v_fma_f16 v3, v141, v3, -v34
	v_fmac_f16_e32 v18, v142, v7
	s_waitcnt vmcnt(55)
	v_lshrrev_b32_e32 v7, 16, v5
	s_waitcnt vmcnt(53)
	v_mul_f16_sdwa v34, v143, v5 dst_sel:DWORD dst_unused:UNUSED_PAD src0_sel:WORD_1 src1_sel:DWORD
	v_fmac_f16_e32 v1, v141, v6
	s_waitcnt vmcnt(52)
	v_mul_f16_sdwa v35, v140, v4 dst_sel:DWORD dst_unused:UNUSED_PAD src0_sel:WORD_1 src1_sel:DWORD
	v_pack_b32_f16 v0, v18, v0
	v_mul_f16_sdwa v6, v143, v7 dst_sel:DWORD dst_unused:UNUSED_PAD src0_sel:WORD_1 src1_sel:DWORD
	v_lshrrev_b32_e32 v18, 16, v4
	v_fma_f16 v7, v143, v7, -v34
	v_pack_b32_f16 v1, v1, v3
	v_fmac_f16_e32 v6, v143, v5
	v_fma_f16 v3, v140, v18, -v35
	v_mul_f16_sdwa v5, v140, v18 dst_sel:DWORD dst_unused:UNUSED_PAD src0_sel:WORD_1 src1_sel:DWORD
	s_waitcnt vmcnt(50)
	v_lshrrev_b32_e32 v18, 16, v15
	v_mul_f16_sdwa v34, v136, v15 dst_sel:DWORD dst_unused:UNUSED_PAD src0_sel:WORD_1 src1_sel:DWORD
	v_pack_b32_f16 v6, v6, v7
	ds_write_b32 v144, v1 offset:5000
	v_fmac_f16_e32 v5, v140, v4
	v_mul_f16_sdwa v1, v136, v18 dst_sel:DWORD dst_unused:UNUSED_PAD src0_sel:WORD_1 src1_sel:DWORD
	v_fma_f16 v4, v136, v18, -v34
	s_waitcnt vmcnt(49)
	v_lshrrev_b32_e32 v7, 16, v14
	s_waitcnt vmcnt(48)
	v_mul_f16_sdwa v18, v134, v14 dst_sel:DWORD dst_unused:UNUSED_PAD src0_sel:WORD_1 src1_sel:DWORD
	v_pack_b32_f16 v3, v5, v3
	ds_write_b32 v144, v6 offset:10000
	v_fmac_f16_e32 v1, v136, v15
	v_mul_f16_sdwa v5, v134, v7 dst_sel:DWORD dst_unused:UNUSED_PAD src0_sel:WORD_1 src1_sel:DWORD
	v_fma_f16 v6, v134, v7, -v18
	s_waitcnt vmcnt(46)
	v_lshrrev_b32_e32 v7, 16, v11
	v_mul_f16_sdwa v15, v133, v11 dst_sel:DWORD dst_unused:UNUSED_PAD src0_sel:WORD_1 src1_sel:DWORD
	ds_write2_b32 v144, v0, v3 offset1:125
	v_fmac_f16_e32 v5, v134, v14
	s_waitcnt vmcnt(44)
	v_lshrrev_b32_e32 v0, 16, v13
	v_pack_b32_f16 v1, v1, v4
	v_mul_f16_sdwa v3, v132, v13 dst_sel:DWORD dst_unused:UNUSED_PAD src0_sel:WORD_1 src1_sel:DWORD
	v_mul_f16_sdwa v4, v133, v7 dst_sel:DWORD dst_unused:UNUSED_PAD src0_sel:WORD_1 src1_sel:DWORD
	v_fma_f16 v7, v133, v7, -v15
	v_pack_b32_f16 v5, v5, v6
	v_mul_f16_sdwa v6, v132, v0 dst_sel:DWORD dst_unused:UNUSED_PAD src0_sel:WORD_1 src1_sel:DWORD
	v_fma_f16 v0, v132, v0, -v3
	s_waitcnt vmcnt(41)
	v_lshrrev_b32_e32 v3, 16, v12
	v_mul_f16_sdwa v14, v131, v12 dst_sel:DWORD dst_unused:UNUSED_PAD src0_sel:WORD_1 src1_sel:DWORD
	v_fmac_f16_e32 v4, v133, v11
	v_fmac_f16_e32 v6, v132, v13
	s_waitcnt vmcnt(40)
	v_lshrrev_b32_e32 v13, 16, v10
	v_add_nc_u32_e32 v34, 0x1800, v144
	v_fma_f16 v11, v131, v3, -v14
	v_mul_f16_sdwa v3, v131, v3 dst_sel:DWORD dst_unused:UNUSED_PAD src0_sel:WORD_1 src1_sel:DWORD
	v_pack_b32_f16 v4, v4, v7
	v_mul_f16_sdwa v7, v129, v10 dst_sel:DWORD dst_unused:UNUSED_PAD src0_sel:WORD_1 src1_sel:DWORD
	v_pack_b32_f16 v0, v6, v0
	v_add_nc_u32_e32 v14, 0x3000, v144
	v_fmac_f16_e32 v3, v131, v12
	v_add_nc_u32_e32 v35, 0x3400, v144
	v_fma_f16 v6, v129, v13, -v7
	v_mul_f16_sdwa v7, v129, v13 dst_sel:DWORD dst_unused:UNUSED_PAD src0_sel:WORD_1 src1_sel:DWORD
	ds_write2_b32 v52, v1, v0 offset0:95 offset1:220
	v_pack_b32_f16 v3, v3, v11
	s_waitcnt vmcnt(38)
	v_lshrrev_b32_e32 v0, 16, v9
	v_mul_f16_sdwa v1, v130, v9 dst_sel:DWORD dst_unused:UNUSED_PAD src0_sel:WORD_1 src1_sel:DWORD
	v_fmac_f16_e32 v7, v129, v10
	ds_write2_b32 v50, v5, v3 offset0:65 offset1:190
	v_mul_f16_sdwa v10, v130, v0 dst_sel:DWORD dst_unused:UNUSED_PAD src0_sel:WORD_1 src1_sel:DWORD
	v_fma_f16 v0, v130, v0, -v1
	v_pack_b32_f16 v5, v7, v6
	s_waitcnt vmcnt(36)
	v_lshrrev_b32_e32 v1, 16, v8
	v_mul_f16_sdwa v3, v145, v8 dst_sel:DWORD dst_unused:UNUSED_PAD src0_sel:WORD_1 src1_sel:DWORD
	s_waitcnt vmcnt(32)
	v_mul_f16_sdwa v6, v164, v29 dst_sel:DWORD dst_unused:UNUSED_PAD src0_sel:WORD_1 src1_sel:DWORD
	v_fmac_f16_e32 v10, v130, v9
	ds_write2_b32 v137, v4, v5 offset0:122 offset1:247
	v_lshrrev_b32_e32 v4, 16, v29
	v_fma_f16 v3, v145, v1, -v3
	v_mul_f16_sdwa v1, v145, v1 dst_sel:DWORD dst_unused:UNUSED_PAD src0_sel:WORD_1 src1_sel:DWORD
	v_lshrrev_b32_e32 v5, 16, v16
	v_pack_b32_f16 v0, v10, v0
	v_mul_f16_sdwa v7, v164, v4 dst_sel:DWORD dst_unused:UNUSED_PAD src0_sel:WORD_1 src1_sel:DWORD
	v_fma_f16 v4, v164, v4, -v6
	v_fmac_f16_e32 v1, v145, v8
	v_mul_f16_sdwa v8, v148, v16 dst_sel:DWORD dst_unused:UNUSED_PAD src0_sel:WORD_1 src1_sel:DWORD
	v_add_nc_u32_e32 v50, 0x2000, v144
	v_fmac_f16_e32 v7, v164, v29
	s_waitcnt vmcnt(29)
	buffer_store_dword v53, off, s[20:23], 0 offset:72 ; 4-byte Folded Spill
	v_pack_b32_f16 v1, v1, v3
	v_fma_f16 v6, v148, v5, -v8
	v_mul_f16_sdwa v5, v148, v5 dst_sel:DWORD dst_unused:UNUSED_PAD src0_sel:WORD_1 src1_sel:DWORD
	v_pack_b32_f16 v3, v7, v4
	v_lshrrev_b32_e32 v4, 16, v30
	v_mul_f16_sdwa v7, v169, v30 dst_sel:DWORD dst_unused:UNUSED_PAD src0_sel:WORD_1 src1_sel:DWORD
	s_waitcnt vmcnt(26)
	v_lshrrev_b32_e32 v8, 16, v25
	v_fmac_f16_e32 v5, v148, v16
	ds_write2_b32 v34, v0, v3 offset0:89 offset1:214
	v_lshrrev_b32_e32 v0, 16, v31
	v_mul_f16_sdwa v3, v169, v4 dst_sel:DWORD dst_unused:UNUSED_PAD src0_sel:WORD_1 src1_sel:DWORD
	v_fma_f16 v4, v169, v4, -v7
	v_mul_f16_sdwa v7, v54, v31 dst_sel:DWORD dst_unused:UNUSED_PAD src0_sel:WORD_1 src1_sel:DWORD
	v_pack_b32_f16 v5, v5, v6
	v_mul_f16_sdwa v6, v54, v0 dst_sel:DWORD dst_unused:UNUSED_PAD src0_sel:WORD_1 src1_sel:DWORD
	v_fmac_f16_e32 v3, v169, v30
	s_waitcnt vmcnt(24)
	v_lshrrev_b32_e32 v9, 16, v26
	v_fma_f16 v0, v54, v0, -v7
	v_mul_f16_sdwa v7, v53, v25 dst_sel:DWORD dst_unused:UNUSED_PAD src0_sel:WORD_1 src1_sel:DWORD
	v_fmac_f16_e32 v6, v54, v31
	v_pack_b32_f16 v3, v3, v4
	v_mul_f16_sdwa v4, v53, v8 dst_sel:DWORD dst_unused:UNUSED_PAD src0_sel:WORD_1 src1_sel:DWORD
	buffer_store_dword v54, off, s[20:23], 0 offset:108 ; 4-byte Folded Spill
	v_fma_f16 v7, v53, v8, -v7
	v_mul_f16_sdwa v8, v48, v26 dst_sel:DWORD dst_unused:UNUSED_PAD src0_sel:WORD_1 src1_sel:DWORD
	v_pack_b32_f16 v0, v6, v0
	ds_write2_b32 v51, v1, v3 offset0:59 offset1:184
	v_fmac_f16_e32 v4, v53, v25
	v_mul_f16_sdwa v1, v48, v9 dst_sel:DWORD dst_unused:UNUSED_PAD src0_sel:WORD_1 src1_sel:DWORD
	v_fma_f16 v3, v48, v9, -v8
	s_waitcnt vmcnt(21)
	v_lshrrev_b32_e32 v6, 16, v32
	v_mul_f16_sdwa v8, v47, v32 dst_sel:DWORD dst_unused:UNUSED_PAD src0_sel:WORD_1 src1_sel:DWORD
	ds_write2_b32 v124, v5, v0 offset0:116 offset1:241
	s_waitcnt vmcnt(20)
	v_lshrrev_b32_e32 v0, 16, v33
	v_mul_f16_sdwa v5, v46, v33 dst_sel:DWORD dst_unused:UNUSED_PAD src0_sel:WORD_1 src1_sel:DWORD
	v_pack_b32_f16 v4, v4, v7
	v_fmac_f16_e32 v1, v48, v26
	v_fma_f16 v7, v47, v6, -v8
	v_mul_f16_sdwa v6, v47, v6 dst_sel:DWORD dst_unused:UNUSED_PAD src0_sel:WORD_1 src1_sel:DWORD
	v_fma_f16 v5, v46, v0, -v5
	v_mul_f16_sdwa v0, v46, v0 dst_sel:DWORD dst_unused:UNUSED_PAD src0_sel:WORD_1 src1_sel:DWORD
	s_waitcnt vmcnt(18)
	v_lshrrev_b32_e32 v8, 16, v21
	v_mul_f16_sdwa v9, v45, v21 dst_sel:DWORD dst_unused:UNUSED_PAD src0_sel:WORD_1 src1_sel:DWORD
	v_pack_b32_f16 v1, v1, v3
	v_fmac_f16_e32 v6, v47, v32
	v_fmac_f16_e32 v0, v46, v33
	v_mul_f16_sdwa v3, v45, v8 dst_sel:DWORD dst_unused:UNUSED_PAD src0_sel:WORD_1 src1_sel:DWORD
	s_waitcnt vmcnt(14)
	v_lshrrev_b32_e32 v10, 16, v22
	v_mul_f16_sdwa v11, v44, v22 dst_sel:DWORD dst_unused:UNUSED_PAD src0_sel:WORD_1 src1_sel:DWORD
	v_fma_f16 v8, v45, v8, -v9
	v_pack_b32_f16 v6, v6, v7
	v_pack_b32_f16 v0, v0, v5
	v_fmac_f16_e32 v3, v45, v21
	v_mul_f16_sdwa v7, v44, v10 dst_sel:DWORD dst_unused:UNUSED_PAD src0_sel:WORD_1 src1_sel:DWORD
	v_fma_f16 v5, v44, v10, -v11
	s_waitcnt vmcnt(12)
	v_lshrrev_b32_e32 v9, 16, v23
	ds_write2_b32 v49, v4, v0 offset0:83 offset1:208
	v_pack_b32_f16 v0, v3, v8
	v_fmac_f16_e32 v7, v44, v22
	s_waitcnt vmcnt(11)
	v_lshrrev_b32_e32 v4, 16, v24
	s_waitcnt vmcnt(10)
	v_mul_f16_sdwa v8, v42, v24 dst_sel:DWORD dst_unused:UNUSED_PAD src0_sel:WORD_1 src1_sel:DWORD
	v_mul_f16_sdwa v10, v43, v23 dst_sel:DWORD dst_unused:UNUSED_PAD src0_sel:WORD_1 src1_sel:DWORD
	ds_write2_b32 v14, v1, v0 offset0:53 offset1:178
	v_pack_b32_f16 v0, v7, v5
	s_waitcnt vmcnt(8)
	v_lshrrev_b32_e32 v5, 16, v27
	v_mul_f16_sdwa v3, v43, v9 dst_sel:DWORD dst_unused:UNUSED_PAD src0_sel:WORD_1 src1_sel:DWORD
	v_fma_f16 v1, v42, v4, -v8
	v_mul_f16_sdwa v7, v41, v27 dst_sel:DWORD dst_unused:UNUSED_PAD src0_sel:WORD_1 src1_sel:DWORD
	v_fma_f16 v9, v43, v9, -v10
	v_mul_f16_sdwa v8, v41, v5 dst_sel:DWORD dst_unused:UNUSED_PAD src0_sel:WORD_1 src1_sel:DWORD
	v_fmac_f16_e32 v3, v43, v23
	v_mul_f16_sdwa v4, v42, v4 dst_sel:DWORD dst_unused:UNUSED_PAD src0_sel:WORD_1 src1_sel:DWORD
	v_fma_f16 v5, v41, v5, -v7
	s_waitcnt vmcnt(5)
	v_lshrrev_b32_e32 v7, 16, v20
	v_fmac_f16_e32 v8, v41, v27
	v_pack_b32_f16 v3, v3, v9
	v_fmac_f16_e32 v4, v42, v24
	v_mul_f16_sdwa v9, v39, v20 dst_sel:DWORD dst_unused:UNUSED_PAD src0_sel:WORD_1 src1_sel:DWORD
	s_waitcnt vmcnt(4)
	v_lshrrev_b32_e32 v10, 16, v28
	v_mul_f16_sdwa v11, v38, v28 dst_sel:DWORD dst_unused:UNUSED_PAD src0_sel:WORD_1 src1_sel:DWORD
	ds_write2_b32 v128, v6, v0 offset0:110 offset1:235
	v_lshrrev_b32_e32 v0, 16, v19
	v_mul_f16_sdwa v6, v40, v19 dst_sel:DWORD dst_unused:UNUSED_PAD src0_sel:WORD_1 src1_sel:DWORD
	v_pack_b32_f16 v5, v8, v5
	s_waitcnt vmcnt(3)
	v_lshrrev_b32_e32 v8, 16, v17
	v_pack_b32_f16 v1, v4, v1
	v_mul_f16_sdwa v4, v39, v7 dst_sel:DWORD dst_unused:UNUSED_PAD src0_sel:WORD_1 src1_sel:DWORD
	v_fma_f16 v7, v39, v7, -v9
	v_fma_f16 v9, v38, v10, -v11
	s_waitcnt vmcnt(2)
	v_lshrrev_b32_e32 v11, 16, v2
	v_fma_f16 v6, v40, v0, -v6
	v_mul_f16_sdwa v0, v40, v0 dst_sel:DWORD dst_unused:UNUSED_PAD src0_sel:WORD_1 src1_sel:DWORD
	v_mul_f16_sdwa v10, v38, v10 dst_sel:DWORD dst_unused:UNUSED_PAD src0_sel:WORD_1 src1_sel:DWORD
	s_waitcnt vmcnt(1)
	v_mul_f16_sdwa v12, v37, v17 dst_sel:DWORD dst_unused:UNUSED_PAD src0_sel:WORD_1 src1_sel:DWORD
	v_mul_f16_sdwa v13, v37, v8 dst_sel:DWORD dst_unused:UNUSED_PAD src0_sel:WORD_1 src1_sel:DWORD
	s_waitcnt vmcnt(0)
	v_mul_f16_sdwa v14, v36, v2 dst_sel:DWORD dst_unused:UNUSED_PAD src0_sel:WORD_1 src1_sel:DWORD
	v_mul_f16_sdwa v15, v36, v11 dst_sel:DWORD dst_unused:UNUSED_PAD src0_sel:WORD_1 src1_sel:DWORD
	v_fmac_f16_e32 v0, v40, v19
	v_fmac_f16_e32 v4, v39, v20
	;; [unrolled: 1-line block ×3, first 2 shown]
	v_fma_f16 v8, v37, v8, -v12
	v_fmac_f16_e32 v13, v37, v17
	v_fma_f16 v11, v36, v11, -v14
	v_fmac_f16_e32 v15, v36, v2
	v_pack_b32_f16 v0, v0, v6
	v_pack_b32_f16 v2, v4, v7
	;; [unrolled: 1-line block ×5, first 2 shown]
	buffer_store_dword v48, off, s[20:23], 0 offset:56 ; 4-byte Folded Spill
	buffer_store_dword v47, off, s[20:23], 0 offset:44 ; 4-byte Folded Spill
	;; [unrolled: 1-line block ×12, first 2 shown]
	buffer_store_dword v36, off, s[20:23], 0 ; 4-byte Folded Spill
	ds_write2_b32 v50, v3, v0 offset0:77 offset1:202
	ds_write2_b32 v35, v1, v2 offset0:47 offset1:172
	;; [unrolled: 1-line block ×3, first 2 shown]
	ds_write_b32 v144, v6 offset:9500
	ds_write_b32 v144, v7 offset:14500
	s_waitcnt lgkmcnt(0)
	s_waitcnt_vscnt null, 0x0
	s_barrier
	buffer_gl0_inv
	ds_read2_b32 v[0:1], v144 offset1:125
	ds_read2_b32 v[2:3], v127 offset0:98 offset1:223
	ds_read2_b32 v[4:5], v135 offset0:68 offset1:193
	;; [unrolled: 1-line block ×3, first 2 shown]
	s_waitcnt lgkmcnt(3)
	v_lshrrev_b32_e32 v14, 16, v0
	v_lshrrev_b32_e32 v15, 16, v1
	s_waitcnt lgkmcnt(2)
	v_add_f16_e32 v8, v0, v2
	v_add_f16_e32 v9, v1, v3
	s_waitcnt lgkmcnt(1)
	v_add_f16_e32 v16, v2, v4
	v_add_f16_sdwa v10, v14, v2 dst_sel:DWORD dst_unused:UNUSED_PAD src0_sel:DWORD src1_sel:WORD_1
	v_add_f16_sdwa v11, v15, v3 dst_sel:DWORD dst_unused:UNUSED_PAD src0_sel:DWORD src1_sel:WORD_1
	v_sub_f16_sdwa v17, v2, v4 dst_sel:DWORD dst_unused:UNUSED_PAD src0_sel:WORD_1 src1_sel:WORD_1
	v_add_f16_sdwa v18, v2, v4 dst_sel:DWORD dst_unused:UNUSED_PAD src0_sel:WORD_1 src1_sel:WORD_1
	v_sub_f16_e32 v19, v2, v4
	v_add_f16_e32 v20, v3, v5
	v_sub_f16_sdwa v21, v3, v5 dst_sel:DWORD dst_unused:UNUSED_PAD src0_sel:WORD_1 src1_sel:WORD_1
	v_add_f16_sdwa v22, v3, v5 dst_sel:DWORD dst_unused:UNUSED_PAD src0_sel:WORD_1 src1_sel:WORD_1
	v_sub_f16_e32 v23, v3, v5
	ds_read2_b32 v[2:3], v70 offset0:92 offset1:217
	v_add_f16_e32 v24, v8, v4
	v_add_f16_e32 v25, v9, v5
	v_add_f16_sdwa v26, v10, v4 dst_sel:DWORD dst_unused:UNUSED_PAD src0_sel:DWORD src1_sel:WORD_1
	v_add_f16_sdwa v27, v11, v5 dst_sel:DWORD dst_unused:UNUSED_PAD src0_sel:DWORD src1_sel:WORD_1
	ds_read2_b32 v[4:5], v139 offset0:62 offset1:187
	s_waitcnt lgkmcnt(2)
	v_lshrrev_b32_e32 v28, 16, v6
	v_lshrrev_b32_e32 v29, 16, v7
	v_fmac_f16_e32 v1, -0.5, v20
	v_fmac_f16_e32 v15, -0.5, v22
	v_fma_f16 v0, -0.5, v16, v0
	v_fmac_f16_e32 v14, -0.5, v18
	v_mul_lo_u16 v18, v126, 3
	v_fmamk_f16 v20, v23, 0xbaee, v15
	v_fmac_f16_e32 v15, 0x3aee, v23
	v_fmamk_f16 v16, v19, 0xbaee, v14
	v_fmac_f16_e32 v14, 0x3aee, v19
	v_lshlrev_b32_sdwa v18, v97, v18 dst_sel:DWORD dst_unused:UNUSED_PAD src0_sel:DWORD src1_sel:WORD_0
	s_waitcnt lgkmcnt(1)
	v_add_f16_e32 v8, v6, v2
	v_add_f16_e32 v9, v7, v3
	v_add_f16_sdwa v10, v29, v3 dst_sel:DWORD dst_unused:UNUSED_PAD src0_sel:DWORD src1_sel:WORD_1
	buffer_store_dword v18, off, s[20:23], 0 offset:60 ; 4-byte Folded Spill
	s_waitcnt lgkmcnt(0)
	v_add_f16_e32 v30, v2, v4
	v_sub_f16_sdwa v31, v2, v4 dst_sel:DWORD dst_unused:UNUSED_PAD src0_sel:WORD_1 src1_sel:WORD_1
	v_add_f16_sdwa v32, v2, v4 dst_sel:DWORD dst_unused:UNUSED_PAD src0_sel:WORD_1 src1_sel:WORD_1
	v_sub_f16_e32 v33, v2, v4
	v_add_f16_sdwa v2, v28, v2 dst_sel:DWORD dst_unused:UNUSED_PAD src0_sel:DWORD src1_sel:WORD_1
	v_add_f16_e32 v34, v3, v5
	v_sub_f16_sdwa v35, v3, v5 dst_sel:DWORD dst_unused:UNUSED_PAD src0_sel:WORD_1 src1_sel:WORD_1
	v_add_f16_sdwa v36, v3, v5 dst_sel:DWORD dst_unused:UNUSED_PAD src0_sel:WORD_1 src1_sel:WORD_1
	v_sub_f16_e32 v37, v3, v5
	v_add_f16_sdwa v40, v2, v4 dst_sel:DWORD dst_unused:UNUSED_PAD src0_sel:DWORD src1_sel:WORD_1
	ds_read2_b32 v[2:3], v124 offset0:116 offset1:241
	v_add_f16_e32 v38, v8, v4
	v_add_f16_e32 v39, v9, v5
	v_add_f16_sdwa v41, v10, v5 dst_sel:DWORD dst_unused:UNUSED_PAD src0_sel:DWORD src1_sel:WORD_1
	ds_read2_b32 v[4:5], v167 offset0:86 offset1:211
	ds_read2_b32 v[8:9], v120 offset0:56 offset1:181
	v_fma_f16 v6, -0.5, v30, v6
	v_fmac_f16_e32 v28, -0.5, v32
	v_fmac_f16_e32 v7, -0.5, v34
	;; [unrolled: 1-line block ×3, first 2 shown]
	s_waitcnt lgkmcnt(2)
	v_lshrrev_b32_e32 v42, 16, v2
	v_lshrrev_b32_e32 v43, 16, v3
	s_waitcnt lgkmcnt(1)
	v_add_f16_e32 v10, v2, v4
	s_waitcnt lgkmcnt(0)
	v_add_f16_e32 v44, v4, v8
	v_sub_f16_sdwa v45, v4, v8 dst_sel:DWORD dst_unused:UNUSED_PAD src0_sel:WORD_1 src1_sel:WORD_1
	v_add_f16_sdwa v46, v4, v8 dst_sel:DWORD dst_unused:UNUSED_PAD src0_sel:WORD_1 src1_sel:WORD_1
	v_sub_f16_e32 v47, v4, v8
	v_add_f16_sdwa v4, v42, v4 dst_sel:DWORD dst_unused:UNUSED_PAD src0_sel:DWORD src1_sel:WORD_1
	v_add_f16_e32 v11, v3, v5
	v_add_f16_e32 v48, v5, v9
	v_sub_f16_sdwa v49, v5, v9 dst_sel:DWORD dst_unused:UNUSED_PAD src0_sel:WORD_1 src1_sel:WORD_1
	v_add_f16_sdwa v50, v5, v9 dst_sel:DWORD dst_unused:UNUSED_PAD src0_sel:WORD_1 src1_sel:WORD_1
	v_add_f16_sdwa v12, v43, v5 dst_sel:DWORD dst_unused:UNUSED_PAD src0_sel:DWORD src1_sel:WORD_1
	v_sub_f16_e32 v51, v5, v9
	v_add_f16_sdwa v54, v4, v8 dst_sel:DWORD dst_unused:UNUSED_PAD src0_sel:DWORD src1_sel:WORD_1
	ds_read2_b32 v[4:5], v128 offset0:110 offset1:235
	v_add_f16_e32 v52, v10, v8
	v_add_f16_e32 v53, v11, v9
	v_add_f16_sdwa v55, v12, v9 dst_sel:DWORD dst_unused:UNUSED_PAD src0_sel:DWORD src1_sel:WORD_1
	ds_read2_b32 v[8:9], v166 offset0:80 offset1:205
	ds_read2_b32 v[10:11], v168 offset0:50 offset1:175
	v_fma_f16 v2, -0.5, v44, v2
	v_fmac_f16_e32 v42, -0.5, v46
	v_fmac_f16_e32 v3, -0.5, v48
	;; [unrolled: 1-line block ×3, first 2 shown]
	v_mov_b32_e32 v48, 15
	s_waitcnt lgkmcnt(2)
	v_lshrrev_b32_e32 v56, 16, v4
	v_lshrrev_b32_e32 v57, 16, v5
	s_waitcnt lgkmcnt(1)
	v_add_f16_e32 v12, v4, v8
	s_waitcnt lgkmcnt(0)
	v_add_f16_e32 v58, v8, v10
	v_sub_f16_sdwa v59, v8, v10 dst_sel:DWORD dst_unused:UNUSED_PAD src0_sel:WORD_1 src1_sel:WORD_1
	v_add_f16_sdwa v60, v8, v10 dst_sel:DWORD dst_unused:UNUSED_PAD src0_sel:WORD_1 src1_sel:WORD_1
	v_sub_f16_e32 v61, v8, v10
	v_add_f16_sdwa v8, v56, v8 dst_sel:DWORD dst_unused:UNUSED_PAD src0_sel:DWORD src1_sel:WORD_1
	v_add_f16_e32 v13, v5, v9
	v_add_f16_e32 v62, v9, v11
	v_sub_f16_sdwa v63, v9, v11 dst_sel:DWORD dst_unused:UNUSED_PAD src0_sel:WORD_1 src1_sel:WORD_1
	v_add_f16_sdwa v64, v9, v11 dst_sel:DWORD dst_unused:UNUSED_PAD src0_sel:WORD_1 src1_sel:WORD_1
	v_add_f16_sdwa v65, v57, v9 dst_sel:DWORD dst_unused:UNUSED_PAD src0_sel:DWORD src1_sel:WORD_1
	v_sub_f16_e32 v71, v9, v11
	v_add_f16_e32 v72, v12, v10
	v_add_f16_sdwa v74, v8, v10 dst_sel:DWORD dst_unused:UNUSED_PAD src0_sel:DWORD src1_sel:WORD_1
	v_add_nc_u32_e32 v12, 0x2200, v144
	ds_read2_b32 v[8:9], v125 offset0:104 offset1:229
	v_add_f16_e32 v73, v13, v11
	v_add_f16_sdwa v65, v65, v11 dst_sel:DWORD dst_unused:UNUSED_PAD src0_sel:DWORD src1_sel:WORD_1
	v_fmac_f16_e32 v56, -0.5, v60
	ds_read2_b32 v[10:11], v12 offset0:74 offset1:199
	v_mov_b32_e32 v98, v12
	ds_read2_b32 v[12:13], v146 offset0:44 offset1:169
	s_waitcnt lgkmcnt(0)
	s_waitcnt_vscnt null, 0x0
	s_barrier
	buffer_gl0_inv
	v_fmac_f16_e32 v5, -0.5, v62
	v_fmac_f16_e32 v57, -0.5, v64
	v_mov_b32_e32 v76, v98
	v_lshrrev_b32_e32 v75, 16, v8
	v_lshrrev_b32_e32 v78, 16, v9
	v_add_f16_e32 v67, v8, v10
	v_add_f16_e32 v68, v9, v11
	v_add_f16_e32 v79, v10, v12
	v_sub_f16_sdwa v80, v10, v12 dst_sel:DWORD dst_unused:UNUSED_PAD src0_sel:WORD_1 src1_sel:WORD_1
	v_add_f16_sdwa v81, v10, v12 dst_sel:DWORD dst_unused:UNUSED_PAD src0_sel:WORD_1 src1_sel:WORD_1
	v_sub_f16_e32 v82, v10, v12
	v_add_f16_sdwa v10, v75, v10 dst_sel:DWORD dst_unused:UNUSED_PAD src0_sel:DWORD src1_sel:WORD_1
	v_add_f16_sdwa v69, v78, v11 dst_sel:DWORD dst_unused:UNUSED_PAD src0_sel:DWORD src1_sel:WORD_1
	v_add_f16_e32 v83, v11, v13
	v_sub_f16_sdwa v84, v11, v13 dst_sel:DWORD dst_unused:UNUSED_PAD src0_sel:WORD_1 src1_sel:WORD_1
	v_add_f16_sdwa v85, v11, v13 dst_sel:DWORD dst_unused:UNUSED_PAD src0_sel:WORD_1 src1_sel:WORD_1
	v_sub_f16_e32 v11, v11, v13
	v_add_f16_e32 v86, v67, v12
	v_add_f16_e32 v87, v68, v13
	v_add_f16_sdwa v10, v10, v12 dst_sel:DWORD dst_unused:UNUSED_PAD src0_sel:DWORD src1_sel:WORD_1
	v_add_f16_sdwa v12, v69, v13 dst_sel:DWORD dst_unused:UNUSED_PAD src0_sel:DWORD src1_sel:WORD_1
	v_fmamk_f16 v13, v21, 0x3aee, v1
	v_fmac_f16_e32 v1, 0xbaee, v21
	v_fmac_f16_e32 v75, -0.5, v81
	v_fmac_f16_e32 v9, -0.5, v83
	;; [unrolled: 1-line block ×3, first 2 shown]
	v_pack_b32_f16 v13, v13, v20
	v_pack_b32_f16 v1, v1, v15
	v_fmamk_f16 v15, v17, 0x3aee, v0
	v_fmac_f16_e32 v0, 0xbaee, v17
	v_pack_b32_f16 v15, v15, v16
	v_pack_b32_f16 v0, v0, v14
	v_pack_b32_f16 v16, v24, v26
	v_pack_b32_f16 v14, v25, v27
	ds_write_b32 v18, v0 offset:8
	v_mul_u32_u24_e32 v0, 3, v118
	ds_write2_b32 v18, v16, v15 offset1:1
	v_mul_u32_u24_e32 v15, 3, v77
	v_lshlrev_b32_e32 v0, 2, v0
	v_lshlrev_b32_e32 v15, 2, v15
	ds_write2_b32 v0, v14, v13 offset1:1
	v_mov_b32_e32 v14, v0
	v_fmamk_f16 v0, v35, 0x3aee, v7
	v_fmamk_f16 v13, v37, 0xbaee, v29
	v_fmac_f16_e32 v7, 0xbaee, v35
	v_fmac_f16_e32 v29, 0x3aee, v37
	buffer_store_dword v14, off, s[20:23], 0 offset:64 ; 4-byte Folded Spill
	ds_write_b32 v14, v1 offset:8
	v_fmamk_f16 v1, v31, 0x3aee, v6
	v_fmamk_f16 v14, v33, 0xbaee, v28
	v_fmac_f16_e32 v6, 0xbaee, v31
	v_fmac_f16_e32 v28, 0x3aee, v33
	v_pack_b32_f16 v0, v0, v13
	v_pack_b32_f16 v7, v7, v29
	;; [unrolled: 1-line block ×4, first 2 shown]
	v_mul_u32_u24_e32 v13, 3, v121
	buffer_store_dword v15, off, s[20:23], 0 offset:68 ; 4-byte Folded Spill
	ds_write2_b32 v15, v14, v1 offset1:1
	v_pack_b32_f16 v1, v6, v28
	v_pack_b32_f16 v6, v39, v41
	v_lshlrev_b32_e32 v13, 2, v13
	ds_write_b32 v15, v1 offset:8
	v_mul_u32_u24_e32 v1, 3, v122
	buffer_store_dword v13, off, s[20:23], 0 offset:84 ; 4-byte Folded Spill
	v_lshlrev_b32_e32 v1, 2, v1
	ds_write2_b32 v1, v6, v0 offset1:1
	v_mov_b32_e32 v6, v1
	v_fmamk_f16 v0, v49, 0x3aee, v3
	v_fmac_f16_e32 v3, 0xbaee, v49
	v_fmamk_f16 v1, v51, 0xbaee, v43
	v_fmac_f16_e32 v43, 0x3aee, v51
	buffer_store_dword v6, off, s[20:23], 0 offset:76 ; 4-byte Folded Spill
	ds_write_b32 v6, v7 offset:8
	v_fmamk_f16 v6, v45, 0x3aee, v2
	v_fmamk_f16 v7, v47, 0xbaee, v42
	v_fmac_f16_e32 v2, 0xbaee, v45
	v_fmac_f16_e32 v42, 0x3aee, v47
	v_pack_b32_f16 v3, v3, v43
	v_pack_b32_f16 v0, v0, v1
	;; [unrolled: 1-line block ×6, first 2 shown]
	ds_write2_b32 v13, v7, v6 offset1:1
	ds_write_b32 v13, v2 offset:8
	v_mul_u32_u24_e32 v2, 3, v119
	v_lshlrev_b32_e32 v2, 2, v2
	ds_write2_b32 v2, v1, v0 offset1:1
	ds_write_b32 v2, v3 offset:8
	v_fma_f16 v0, -0.5, v58, v4
	v_add_nc_u32_e32 v3, 0x2ee, v138
	buffer_store_dword v2, off, s[20:23], 0 offset:80 ; 4-byte Folded Spill
	v_fmamk_f16 v2, v61, 0xbaee, v56
	v_fmac_f16_e32 v56, 0x3aee, v61
	v_fmamk_f16 v1, v59, 0x3aee, v0
	v_mul_u32_u24_e32 v3, 3, v3
	v_fmac_f16_e32 v0, 0xbaee, v59
	v_pack_b32_f16 v1, v1, v2
	v_lshlrev_b32_e32 v3, 2, v3
	v_pack_b32_f16 v0, v0, v56
	v_pack_b32_f16 v2, v72, v74
	buffer_store_dword v3, off, s[20:23], 0 offset:88 ; 4-byte Folded Spill
	ds_write_b32 v3, v0 offset:8
	v_add_nc_u32_e32 v0, 0x36b, v138
	ds_write2_b32 v3, v2, v1 offset1:1
	v_fmamk_f16 v1, v63, 0x3aee, v5
	v_fmamk_f16 v2, v71, 0xbaee, v57
	v_fmac_f16_e32 v5, 0xbaee, v63
	v_mul_u32_u24_e32 v0, 3, v0
	v_fmac_f16_e32 v57, 0x3aee, v71
	v_fmamk_f16 v3, v82, 0xbaee, v75
	v_pack_b32_f16 v1, v1, v2
	v_pack_b32_f16 v2, v73, v65
	v_lshlrev_b32_e32 v0, 2, v0
	v_fmac_f16_e32 v75, 0x3aee, v82
	v_and_b32_e32 v71, 0xff, v118
	ds_write2_b32 v0, v2, v1 offset1:1
	v_mov_b32_e32 v4, v0
	v_pack_b32_f16 v0, v5, v57
	v_fma_f16 v1, -0.5, v79, v8
	buffer_store_dword v4, off, s[20:23], 0 offset:92 ; 4-byte Folded Spill
	ds_write_b32 v4, v0 offset:8
	v_add_nc_u32_e32 v0, 0x3e8, v138
	v_fmamk_f16 v2, v80, 0x3aee, v1
	v_fmac_f16_e32 v1, 0xbaee, v80
	v_mul_u32_u24_e32 v0, 3, v0
	v_pack_b32_f16 v2, v2, v3
	v_pack_b32_f16 v1, v1, v75
	;; [unrolled: 1-line block ×3, first 2 shown]
	v_lshlrev_b32_e32 v0, 2, v0
	v_mov_b32_e32 v4, v0
	ds_write2_b32 v0, v3, v2 offset1:1
	v_fmamk_f16 v0, v84, 0x3aee, v9
	v_fmamk_f16 v2, v11, 0xbaee, v78
	v_fmac_f16_e32 v9, 0xbaee, v84
	ds_write_b32 v4, v1 offset:8
	v_add_nc_u32_e32 v1, 0x465, v138
	v_fmac_f16_e32 v78, 0x3aee, v11
	v_pack_b32_f16 v0, v0, v2
	v_pack_b32_f16 v2, v87, v12
	buffer_store_dword v4, off, s[20:23], 0 offset:100 ; 4-byte Folded Spill
	v_mul_u32_u24_e32 v1, 3, v1
	v_pack_b32_f16 v3, v9, v78
	v_lshlrev_b32_e32 v1, 2, v1
	buffer_store_dword v1, off, s[20:23], 0 offset:96 ; 4-byte Folded Spill
	ds_write2_b32 v1, v2, v0 offset1:1
	ds_write_b32 v1, v3 offset:8
	v_and_b32_e32 v2, 0xff, v126
	v_mul_lo_u16 v3, 0xab, v71
	s_waitcnt lgkmcnt(0)
	s_waitcnt_vscnt null, 0x0
	s_barrier
	buffer_gl0_inv
	v_mul_lo_u16 v0, 0xab, v2
	v_lshrrev_b16 v3, 9, v3
	v_lshrrev_b16 v0, 9, v0
	v_mul_lo_u16 v4, v3, 3
	v_mul_u32_u24_sdwa v3, v3, v48 dst_sel:DWORD dst_unused:UNUSED_PAD src0_sel:WORD_0 src1_sel:DWORD
	v_mul_lo_u16 v1, v0, 3
	v_sub_nc_u16 v4, v118, v4
	v_mul_u32_u24_sdwa v0, v0, v48 dst_sel:DWORD dst_unused:UNUSED_PAD src0_sel:WORD_0 src1_sel:DWORD
	v_sub_nc_u16 v1, v126, v1
	v_and_b32_e32 v49, 0xff, v4
	v_and_b32_e32 v1, 0xff, v1
	v_lshlrev_b32_e32 v6, 4, v49
	v_add_lshl_u32 v13, v3, v49, 2
	v_lshlrev_b32_e32 v5, 4, v1
	v_add_lshl_u32 v12, v0, v1, 2
	ds_read2_b32 v[0:1], v128 offset0:110 offset1:235
	s_clause 0x1
	global_load_dwordx4 v[159:162], v5, s[2:3]
	global_load_dwordx4 v[216:219], v6, s[2:3]
	s_waitcnt lgkmcnt(0)
	v_lshrrev_b32_e32 v4, 16, v0
	s_waitcnt vmcnt(1)
	v_mul_f16_sdwa v5, v4, v159 dst_sel:DWORD dst_unused:UNUSED_PAD src0_sel:DWORD src1_sel:WORD_1
	v_mul_f16_sdwa v52, v0, v159 dst_sel:DWORD dst_unused:UNUSED_PAD src0_sel:DWORD src1_sel:WORD_1
	s_waitcnt vmcnt(0)
	v_mul_f16_sdwa v53, v1, v216 dst_sel:DWORD dst_unused:UNUSED_PAD src0_sel:DWORD src1_sel:WORD_1
	v_fma_f16 v50, v0, v159, -v5
	v_lshrrev_b32_e32 v5, 16, v1
	v_fmac_f16_e32 v52, v4, v159
	v_mul_f16_sdwa v6, v5, v216 dst_sel:DWORD dst_unused:UNUSED_PAD src0_sel:DWORD src1_sel:WORD_1
	v_fmac_f16_e32 v53, v5, v216
	v_fma_f16 v51, v1, v216, -v6
	ds_read2_b32 v[0:1], v70 offset0:92 offset1:217
	s_waitcnt lgkmcnt(0)
	v_lshrrev_b32_e32 v6, 16, v0
	v_mul_f16_sdwa v56, v0, v160 dst_sel:DWORD dst_unused:UNUSED_PAD src0_sel:DWORD src1_sel:WORD_1
	v_mul_f16_sdwa v57, v1, v217 dst_sel:DWORD dst_unused:UNUSED_PAD src0_sel:DWORD src1_sel:WORD_1
	;; [unrolled: 1-line block ×3, first 2 shown]
	v_fmac_f16_e32 v56, v6, v160
	v_fma_f16 v54, v0, v160, -v7
	v_lshrrev_b32_e32 v7, 16, v1
	v_mul_f16_sdwa v8, v7, v217 dst_sel:DWORD dst_unused:UNUSED_PAD src0_sel:DWORD src1_sel:WORD_1
	v_fmac_f16_e32 v57, v7, v217
	v_fma_f16 v55, v1, v217, -v8
	ds_read2_b32 v[0:1], v98 offset0:74 offset1:199
	v_sub_f16_e32 v48, v51, v55
	s_waitcnt lgkmcnt(0)
	v_lshrrev_b32_e32 v8, 16, v0
	v_mul_f16_sdwa v60, v0, v161 dst_sel:DWORD dst_unused:UNUSED_PAD src0_sel:DWORD src1_sel:WORD_1
	v_mul_f16_sdwa v61, v1, v218 dst_sel:DWORD dst_unused:UNUSED_PAD src0_sel:DWORD src1_sel:WORD_1
	v_mul_f16_sdwa v9, v8, v161 dst_sel:DWORD dst_unused:UNUSED_PAD src0_sel:DWORD src1_sel:WORD_1
	v_fmac_f16_e32 v60, v8, v161
	v_fma_f16 v58, v0, v161, -v9
	v_lshrrev_b32_e32 v9, 16, v1
	v_sub_f16_e32 v95, v56, v60
	v_sub_f16_e32 v100, v54, v58
	v_mul_f16_sdwa v10, v9, v218 dst_sel:DWORD dst_unused:UNUSED_PAD src0_sel:DWORD src1_sel:WORD_1
	v_fmac_f16_e32 v61, v9, v218
	v_fma_f16 v59, v1, v218, -v10
	ds_read2_b32 v[0:1], v120 offset0:56 offset1:181
	v_sub_f16_e32 v80, v57, v61
	v_add_f16_e32 v4, v55, v59
	v_sub_f16_e32 v82, v55, v59
	s_waitcnt lgkmcnt(0)
	v_lshrrev_b32_e32 v10, 16, v0
	v_mul_f16_sdwa v64, v0, v162 dst_sel:DWORD dst_unused:UNUSED_PAD src0_sel:DWORD src1_sel:WORD_1
	v_mul_f16_sdwa v65, v1, v219 dst_sel:DWORD dst_unused:UNUSED_PAD src0_sel:DWORD src1_sel:WORD_1
	;; [unrolled: 1-line block ×3, first 2 shown]
	v_fmac_f16_e32 v64, v10, v162
	v_fma_f16 v62, v0, v162, -v11
	v_lshrrev_b32_e32 v11, 16, v1
	v_sub_f16_e32 v94, v52, v64
	v_sub_f16_e32 v99, v50, v62
	v_mul_f16_sdwa v16, v11, v219 dst_sel:DWORD dst_unused:UNUSED_PAD src0_sel:DWORD src1_sel:WORD_1
	v_fmac_f16_e32 v65, v11, v219
	v_fma_f16 v63, v1, v219, -v16
	ds_read2_b32 v[0:1], v144 offset1:125
	v_sub_f16_e32 v84, v53, v65
	v_sub_f16_e32 v6, v59, v63
	;; [unrolled: 1-line block ×3, first 2 shown]
	s_waitcnt lgkmcnt(0)
	v_fma_f16 v72, -0.5, v4, v1
	v_add_f16_e32 v4, v51, v63
	v_lshrrev_b32_e32 v5, 16, v1
	v_add_f16_e32 v73, v1, v51
	v_lshrrev_b32_e32 v89, 16, v0
	v_fmac_f16_e32 v1, -0.5, v4
	v_add_f16_e32 v4, v57, v61
	v_add_f16_e32 v75, v5, v53
	v_fmamk_f16 v81, v80, 0xbb9c, v1
	v_fma_f16 v74, -0.5, v4, v5
	v_add_f16_e32 v4, v53, v65
	v_fmac_f16_e32 v1, 0x3b9c, v80
	v_fmac_f16_e32 v81, 0x38b4, v84
	v_fmac_f16_e32 v5, -0.5, v4
	v_sub_f16_e32 v4, v55, v51
	v_fmac_f16_e32 v1, 0xb8b4, v84
	v_sub_f16_e32 v51, v53, v57
	v_fmamk_f16 v83, v82, 0x3b9c, v5
	v_add_f16_e32 v78, v4, v6
	v_sub_f16_e32 v4, v57, v53
	v_sub_f16_e32 v6, v61, v65
	v_fmac_f16_e32 v5, 0xbb9c, v82
	v_sub_f16_e32 v53, v63, v59
	v_fmac_f16_e32 v1, 0x34f2, v78
	v_fmac_f16_e32 v83, 0xb8b4, v85
	v_add_f16_e32 v79, v4, v6
	v_fmac_f16_e32 v5, 0x38b4, v85
	v_add_f16_e32 v4, v54, v58
	v_add_f16_e32 v3, v48, v53
	v_fmac_f16_e32 v81, 0x34f2, v78
	v_fmac_f16_e32 v83, 0x34f2, v79
	;; [unrolled: 1-line block ×3, first 2 shown]
	v_fma_f16 v86, -0.5, v4, v0
	v_add_f16_e32 v4, v50, v62
	v_pack_b32_f16 v88, v1, v5
	v_sub_f16_e32 v1, v50, v54
	v_fma_f16 v87, -0.5, v4, v0
	v_sub_f16_e32 v4, v62, v58
	v_add_f16_e32 v0, v0, v50
	v_sub_f16_e32 v50, v54, v50
	v_add_f16_e32 v90, v1, v4
	v_sub_f16_e32 v1, v52, v56
	v_sub_f16_e32 v4, v64, v60
	v_add_f16_e32 v0, v0, v54
	v_sub_f16_e32 v54, v58, v62
	v_add_f16_e32 v91, v1, v4
	v_add_f16_e32 v1, v89, v52
	;; [unrolled: 1-line block ×4, first 2 shown]
	v_fmamk_f16 v54, v95, 0xbb9c, v87
	v_fmac_f16_e32 v87, 0x3b9c, v95
	v_add_f16_e32 v1, v1, v56
	v_add_f16_e32 v0, v0, v62
	v_sub_f16_e32 v58, v60, v64
	v_fmac_f16_e32 v54, 0x38b4, v94
	v_fmac_f16_e32 v87, 0xb8b4, v94
	v_add_f16_e32 v1, v1, v60
	v_fmac_f16_e32 v54, 0x34f2, v50
	v_fmac_f16_e32 v87, 0x34f2, v50
	v_add_f16_e32 v1, v1, v64
	v_pack_b32_f16 v92, v0, v1
	v_add_f16_e32 v0, v56, v60
	v_sub_f16_e32 v56, v56, v52
	v_add_f16_e32 v52, v52, v64
	v_fma_f16 v93, -0.5, v0, v89
	v_fmamk_f16 v0, v94, 0x3b9c, v86
	v_fmac_f16_e32 v89, -0.5, v52
	v_add_f16_e32 v52, v56, v58
	v_fmac_f16_e32 v86, 0xbb9c, v94
	v_fmamk_f16 v1, v99, 0xbb9c, v93
	v_fmac_f16_e32 v0, 0x38b4, v95
	v_fmamk_f16 v50, v100, 0x3b9c, v89
	v_fmac_f16_e32 v89, 0xbb9c, v100
	v_fmac_f16_e32 v93, 0x3b9c, v99
	v_fmac_f16_e32 v1, 0xb8b4, v100
	v_fmac_f16_e32 v0, 0x34f2, v90
	v_fmac_f16_e32 v50, 0xb8b4, v99
	v_fmac_f16_e32 v89, 0x38b4, v99
	v_fmac_f16_e32 v86, 0xb8b4, v95
	v_fmac_f16_e32 v1, 0x34f2, v91
	v_fmac_f16_e32 v93, 0x38b4, v100
	v_fmac_f16_e32 v50, 0x34f2, v52
	v_fmac_f16_e32 v89, 0x34f2, v52
	v_fmac_f16_e32 v86, 0x34f2, v90
	v_pack_b32_f16 v151, v0, v1
	v_mov_b32_e32 v0, 0xaaab
	v_pack_b32_f16 v50, v54, v50
	v_pack_b32_f16 v52, v87, v89
	v_sub_f16_e32 v54, v65, v61
	v_fmac_f16_e32 v93, 0x34f2, v91
	v_mul_u32_u24_sdwa v1, v77, v0 dst_sel:DWORD dst_unused:UNUSED_PAD src0_sel:WORD_0 src1_sel:DWORD
	v_mul_u32_u24_sdwa v4, v122, v0 dst_sel:DWORD dst_unused:UNUSED_PAD src0_sel:WORD_0 src1_sel:DWORD
	;; [unrolled: 1-line block ×4, first 2 shown]
	v_add_f16_e32 v48, v51, v54
	v_lshrrev_b32_e32 v170, 17, v1
	v_lshrrev_b32_e32 v171, 17, v4
	;; [unrolled: 1-line block ×4, first 2 shown]
	v_fmamk_f16 v51, v84, 0x3b9c, v72
	v_mul_lo_u16 v0, v170, 3
	v_fmac_f16_e32 v72, 0xbb9c, v84
	v_fmac_f16_e32 v51, 0x38b4, v80
	v_sub_nc_u16 v173, v77, v0
	v_mul_lo_u16 v0, v171, 3
	v_fmac_f16_e32 v72, 0xb8b4, v80
	v_fmac_f16_e32 v51, 0x34f2, v3
	v_sub_nc_u16 v174, v122, v0
	v_mul_lo_u16 v0, v172, 3
	v_fmac_f16_e32 v72, 0x34f2, v3
	v_sub_nc_u16 v175, v121, v0
	v_mul_lo_u16 v0, v4, 3
	v_sub_nc_u16 v5, v119, v0
	v_lshlrev_b16 v0, 2, v173
	v_mad_u16 v4, v4, 15, v5
	v_lshlrev_b32_sdwa v24, v97, v0 dst_sel:DWORD dst_unused:UNUSED_PAD src0_sel:DWORD src1_sel:WORD_0
	v_lshlrev_b16 v0, 2, v174
	v_lshlrev_b32_sdwa v25, v97, v0 dst_sel:DWORD dst_unused:UNUSED_PAD src0_sel:DWORD src1_sel:WORD_0
	v_lshlrev_b16 v0, 2, v175
	;; [unrolled: 2-line block ×3, first 2 shown]
	v_lshlrev_b32_sdwa v27, v97, v0 dst_sel:DWORD dst_unused:UNUSED_PAD src0_sel:DWORD src1_sel:WORD_0
	ds_read2_b32 v[6:7], v137 offset0:122 offset1:247
	ds_read2_b32 v[8:9], v125 offset0:104 offset1:229
	;; [unrolled: 1-line block ×10, first 2 shown]
	s_clause 0x3
	global_load_dwordx4 v[36:39], v24, s[2:3]
	global_load_dwordx4 v[32:35], v25, s[2:3]
	;; [unrolled: 1-line block ×4, first 2 shown]
	s_waitcnt vmcnt(0) lgkmcnt(0)
	s_barrier
	buffer_gl0_inv
	ds_write2_b32 v12, v50, v52 offset0:6 offset1:9
	v_add_f16_e32 v50, v73, v55
	v_add_f16_e32 v52, v75, v57
	ds_write2_b32 v12, v92, v151 offset1:3
	buffer_store_dword v12, off, s[20:23], 0 offset:104 ; 4-byte Folded Spill
	v_mov_b32_e32 v151, 0x4b
	v_add_f16_e32 v50, v50, v59
	v_add_f16_e32 v52, v52, v61
	v_lshrrev_b32_e32 v3, 16, v8
	v_lshrrev_b32_e32 v55, 16, v6
	v_lshrrev_b32_e32 v53, 16, v18
	v_add_f16_e32 v50, v50, v63
	v_add_f16_e32 v52, v52, v65
	v_pack_b32_f16 v49, v50, v52
	v_fmamk_f16 v52, v85, 0xbb9c, v74
	v_pack_b32_f16 v50, v86, v93
	v_fmac_f16_e32 v74, 0x3b9c, v85
	v_fmac_f16_e32 v52, 0xb8b4, v82
	;; [unrolled: 1-line block ×5, first 2 shown]
	v_pack_b32_f16 v51, v51, v52
	ds_write_b32 v12, v50 offset:48
	ds_write2_b32 v13, v49, v51 offset1:3
	v_pack_b32_f16 v49, v81, v83
	v_lshrrev_b32_e32 v51, 16, v16
	buffer_store_dword v13, off, s[20:23], 0 offset:112 ; 4-byte Folded Spill
	ds_write2_b32 v13, v49, v88 offset0:6 offset1:9
	v_lshrrev_b32_e32 v49, 16, v10
	v_mul_f16_sdwa v48, v8, v36 dst_sel:DWORD dst_unused:UNUSED_PAD src0_sel:DWORD src1_sel:WORD_1
	v_mul_f16_sdwa v50, v10, v37 dst_sel:DWORD dst_unused:UNUSED_PAD src0_sel:DWORD src1_sel:WORD_1
	;; [unrolled: 1-line block ×4, first 2 shown]
	v_fmac_f16_e32 v48, v3, v36
	v_mul_f16_sdwa v3, v3, v36 dst_sel:DWORD dst_unused:UNUSED_PAD src0_sel:DWORD src1_sel:WORD_1
	v_fmac_f16_e32 v50, v49, v37
	v_mul_f16_sdwa v49, v49, v37 dst_sel:DWORD dst_unused:UNUSED_PAD src0_sel:DWORD src1_sel:WORD_1
	;; [unrolled: 2-line block ×4, first 2 shown]
	v_fma_f16 v3, v8, v36, -v3
	v_fma_f16 v8, v10, v37, -v49
	;; [unrolled: 1-line block ×3, first 2 shown]
	v_sub_f16_e32 v51, v48, v50
	v_fma_f16 v16, v18, v39, -v53
	v_sub_f16_e32 v53, v54, v52
	v_add_f16_e32 v56, v55, v48
	v_sub_f16_e32 v18, v3, v8
	v_sub_f16_e32 v63, v8, v10
	v_sub_f16_e32 v61, v3, v16
	v_add_f16_e32 v51, v51, v53
	v_add_f16_e32 v53, v6, v3
	v_add_f16_e32 v56, v56, v50
	v_sub_f16_e32 v49, v16, v10
	v_sub_f16_e32 v59, v50, v52
	;; [unrolled: 1-line block ×3, first 2 shown]
	v_add_f16_e32 v53, v53, v8
	v_add_f16_e32 v56, v56, v52
	;; [unrolled: 1-line block ×4, first 2 shown]
	v_pack_b32_f16 v49, v72, v74
	v_add_f16_e32 v53, v53, v10
	v_add_f16_e32 v56, v56, v54
	v_fma_f16 v60, -0.5, v60, v55
	ds_write_b32 v13, v49 offset:48
	v_add_f16_e32 v53, v53, v16
	v_mad_u16 v49, v170, 15, v173
	v_fmamk_f16 v62, v61, 0xbb9c, v60
	v_fmac_f16_e32 v60, 0x3b9c, v61
	v_pack_b32_f16 v53, v53, v56
	v_add_f16_e32 v56, v8, v10
	v_sub_f16_e32 v8, v8, v3
	v_add_f16_e32 v3, v3, v16
	v_sub_f16_e32 v10, v10, v16
	v_sub_f16_e32 v16, v52, v54
	v_fma_f16 v56, -0.5, v56, v6
	v_lshlrev_b32_sdwa v170, v97, v49 dst_sel:DWORD dst_unused:UNUSED_PAD src0_sel:DWORD src1_sel:WORD_0
	v_fma_f16 v3, -0.5, v3, v6
	v_add_f16_e32 v8, v8, v10
	v_add_f16_e32 v10, v48, v54
	v_fmamk_f16 v58, v57, 0x3b9c, v56
	v_fmac_f16_e32 v56, 0xbb9c, v57
	v_fmamk_f16 v6, v59, 0xbb9c, v3
	v_fmac_f16_e32 v3, 0x3b9c, v59
	v_fmac_f16_e32 v55, -0.5, v10
	v_sub_f16_e32 v10, v50, v48
	v_lshrrev_b32_e32 v48, 16, v19
	v_fmac_f16_e32 v6, 0x38b4, v57
	v_fmac_f16_e32 v3, 0xb8b4, v57
	;; [unrolled: 1-line block ×4, first 2 shown]
	v_mul_f16_sdwa v49, v48, v35 dst_sel:DWORD dst_unused:UNUSED_PAD src0_sel:DWORD src1_sel:WORD_1
	v_fmac_f16_e32 v6, 0x34f2, v8
	v_fmac_f16_e32 v3, 0x34f2, v8
	v_add_f16_e32 v8, v10, v16
	v_fmamk_f16 v10, v63, 0x3b9c, v55
	v_fmac_f16_e32 v55, 0xbb9c, v63
	v_fma_f16 v49, v19, v35, -v49
	v_mul_f16_sdwa v19, v19, v35 dst_sel:DWORD dst_unused:UNUSED_PAD src0_sel:DWORD src1_sel:WORD_1
	v_fmac_f16_e32 v62, 0xb8b4, v63
	v_fmac_f16_e32 v10, 0xb8b4, v61
	;; [unrolled: 1-line block ×8, first 2 shown]
	v_mul_f16_sdwa v8, v9, v32 dst_sel:DWORD dst_unused:UNUSED_PAD src0_sel:DWORD src1_sel:WORD_1
	v_fmac_f16_e32 v56, 0x34f2, v18
	v_lshrrev_b32_e32 v50, 16, v7
	v_pack_b32_f16 v6, v6, v10
	v_pack_b32_f16 v3, v3, v55
	v_mul_f16_sdwa v10, v11, v33 dst_sel:DWORD dst_unused:UNUSED_PAD src0_sel:DWORD src1_sel:WORD_1
	v_fmac_f16_e32 v62, 0x34f2, v51
	v_fmac_f16_e32 v60, 0x34f2, v51
	ds_write2_b32 v170, v6, v3 offset0:6 offset1:9
	v_lshrrev_b32_e32 v3, 16, v9
	v_pack_b32_f16 v58, v58, v62
	v_mul_f16_sdwa v6, v3, v32 dst_sel:DWORD dst_unused:UNUSED_PAD src0_sel:DWORD src1_sel:WORD_1
	v_fmac_f16_e32 v8, v3, v32
	v_lshrrev_b32_e32 v3, 16, v11
	ds_write2_b32 v170, v53, v58 offset1:3
	v_fma_f16 v6, v9, v32, -v6
	v_add_f16_e32 v51, v50, v8
	v_mul_f16_sdwa v9, v3, v33 dst_sel:DWORD dst_unused:UNUSED_PAD src0_sel:DWORD src1_sel:WORD_1
	v_fmac_f16_e32 v10, v3, v33
	v_sub_f16_e32 v52, v8, v19
	v_fma_f16 v9, v11, v33, -v9
	v_lshrrev_b32_e32 v11, 16, v17
	v_sub_f16_e32 v18, v8, v10
	v_add_f16_e32 v51, v51, v10
	v_sub_f16_e32 v3, v6, v9
	v_mul_f16_sdwa v16, v11, v34 dst_sel:DWORD dst_unused:UNUSED_PAD src0_sel:DWORD src1_sel:WORD_1
	v_fma_f16 v16, v17, v34, -v16
	v_mul_f16_sdwa v17, v17, v34 dst_sel:DWORD dst_unused:UNUSED_PAD src0_sel:DWORD src1_sel:WORD_1
	v_sub_f16_e32 v58, v9, v16
	v_fmac_f16_e32 v17, v11, v34
	v_sub_f16_e32 v11, v49, v16
	v_sub_f16_e32 v48, v19, v17
	v_add_f16_e32 v51, v51, v17
	v_add_f16_e32 v3, v3, v11
	v_pack_b32_f16 v11, v56, v60
	v_sub_f16_e32 v54, v10, v17
	v_add_f16_e32 v18, v18, v48
	v_add_f16_e32 v48, v7, v6
	;; [unrolled: 1-line block ×3, first 2 shown]
	ds_write_b32 v170, v11 offset:48
	v_mad_u16 v11, v171, 15, v174
	v_add_f16_e32 v55, v10, v17
	v_add_f16_e32 v48, v48, v9
	v_sub_f16_e32 v56, v6, v49
	v_sub_f16_e32 v10, v10, v8
	v_add_f16_e32 v8, v8, v19
	v_fma_f16 v55, -0.5, v55, v50
	v_add_f16_e32 v48, v48, v16
	v_lshlrev_b32_sdwa v171, v97, v11 dst_sel:DWORD dst_unused:UNUSED_PAD src0_sel:DWORD src1_sel:WORD_0
	v_sub_f16_e32 v11, v16, v49
	v_fmac_f16_e32 v50, -0.5, v8
	v_fmamk_f16 v57, v56, 0xbb9c, v55
	v_add_f16_e32 v48, v48, v49
	v_fmac_f16_e32 v55, 0x3b9c, v56
	v_fmac_f16_e32 v57, 0xb8b4, v58
	v_pack_b32_f16 v48, v48, v51
	v_add_f16_e32 v51, v9, v16
	v_sub_f16_e32 v9, v9, v6
	v_add_f16_e32 v6, v6, v49
	v_sub_f16_e32 v16, v17, v19
	v_fmac_f16_e32 v57, 0x34f2, v18
	v_fma_f16 v51, -0.5, v51, v7
	v_fmac_f16_e32 v55, 0x38b4, v58
	v_fmac_f16_e32 v7, -0.5, v6
	v_add_f16_e32 v6, v9, v11
	v_add_f16_e32 v8, v10, v16
	v_fmamk_f16 v10, v58, 0x3b9c, v50
	v_fmac_f16_e32 v50, 0xbb9c, v58
	v_fmamk_f16 v9, v54, 0xbb9c, v7
	v_fmac_f16_e32 v7, 0x3b9c, v54
	;; [unrolled: 2-line block ×3, first 2 shown]
	v_fmac_f16_e32 v50, 0x38b4, v56
	v_fmac_f16_e32 v9, 0x38b4, v52
	;; [unrolled: 1-line block ×10, first 2 shown]
	v_mul_f16_sdwa v8, v42, v29 dst_sel:DWORD dst_unused:UNUSED_PAD src0_sel:DWORD src1_sel:WORD_1
	v_pack_b32_f16 v6, v9, v10
	v_pack_b32_f16 v7, v7, v50
	v_fmac_f16_e32 v53, 0x34f2, v3
	v_fmac_f16_e32 v51, 0x34f2, v3
	v_lshrrev_b32_e32 v3, 16, v40
	v_lshrrev_b32_e32 v9, 16, v44
	ds_write2_b32 v171, v6, v7 offset0:6 offset1:9
	v_mul_f16_sdwa v6, v40, v28 dst_sel:DWORD dst_unused:UNUSED_PAD src0_sel:DWORD src1_sel:WORD_1
	v_lshrrev_b32_e32 v7, 16, v42
	v_mul_f16_sdwa v10, v44, v30 dst_sel:DWORD dst_unused:UNUSED_PAD src0_sel:DWORD src1_sel:WORD_1
	v_lshrrev_b32_e32 v11, 16, v46
	v_mul_f16_sdwa v16, v46, v31 dst_sel:DWORD dst_unused:UNUSED_PAD src0_sel:DWORD src1_sel:WORD_1
	v_fmac_f16_e32 v6, v3, v28
	v_mul_f16_sdwa v3, v3, v28 dst_sel:DWORD dst_unused:UNUSED_PAD src0_sel:DWORD src1_sel:WORD_1
	v_fmac_f16_e32 v8, v7, v29
	;; [unrolled: 2-line block ×3, first 2 shown]
	v_fmac_f16_e32 v16, v11, v31
	v_mul_f16_sdwa v9, v9, v30 dst_sel:DWORD dst_unused:UNUSED_PAD src0_sel:DWORD src1_sel:WORD_1
	v_fma_f16 v3, v40, v28, -v3
	v_fma_f16 v7, v42, v29, -v7
	v_sub_f16_e32 v19, v6, v8
	v_sub_f16_e32 v40, v16, v10
	v_lshrrev_b32_e32 v42, 16, v0
	v_fma_f16 v9, v44, v30, -v9
	v_mul_f16_sdwa v11, v11, v31 dst_sel:DWORD dst_unused:UNUSED_PAD src0_sel:DWORD src1_sel:WORD_1
	v_pack_b32_f16 v53, v53, v57
	v_add_f16_e32 v19, v19, v40
	v_add_f16_e32 v40, v0, v3
	v_add_f16_e32 v44, v42, v6
	v_fma_f16 v11, v46, v31, -v11
	v_fmac_f16_e32 v55, 0x34f2, v18
	v_sub_f16_e32 v17, v3, v7
	v_add_f16_e32 v40, v40, v7
	v_add_f16_e32 v44, v44, v8
	v_sub_f16_e32 v18, v11, v9
	ds_write2_b32 v171, v48, v53 offset1:3
	v_sub_f16_e32 v53, v7, v9
	v_add_f16_e32 v40, v40, v9
	v_add_f16_e32 v44, v44, v10
	;; [unrolled: 1-line block ×3, first 2 shown]
	v_pack_b32_f16 v18, v51, v55
	v_sub_f16_e32 v51, v3, v11
	v_add_f16_e32 v40, v40, v11
	v_add_f16_e32 v44, v44, v16
	v_sub_f16_e32 v49, v8, v10
	v_sub_f16_e32 v46, v6, v16
	v_add_f16_e32 v50, v8, v10
	ds_write_b32 v171, v18 offset:48
	v_pack_b32_f16 v40, v40, v44
	v_add_f16_e32 v44, v7, v9
	v_sub_f16_e32 v7, v7, v3
	v_add_f16_e32 v3, v3, v11
	v_sub_f16_e32 v9, v9, v11
	v_fma_f16 v50, -0.5, v50, v42
	v_fma_f16 v44, -0.5, v44, v0
	v_mad_u16 v18, v172, 15, v175
	v_fma_f16 v0, -0.5, v3, v0
	v_add_f16_e32 v7, v7, v9
	v_add_f16_e32 v9, v6, v16
	v_sub_f16_e32 v6, v8, v6
	v_sub_f16_e32 v8, v10, v16
	v_fmamk_f16 v3, v49, 0xbb9c, v0
	v_fmac_f16_e32 v0, 0x3b9c, v49
	v_fmac_f16_e32 v42, -0.5, v9
	v_fmamk_f16 v48, v46, 0x3b9c, v44
	v_fmamk_f16 v52, v51, 0xbb9c, v50
	v_fmac_f16_e32 v3, 0x38b4, v46
	v_fmac_f16_e32 v0, 0xb8b4, v46
	v_add_f16_e32 v6, v6, v8
	v_fmac_f16_e32 v48, 0x38b4, v49
	v_fmac_f16_e32 v52, 0xb8b4, v53
	;; [unrolled: 1-line block ×4, first 2 shown]
	v_fmamk_f16 v7, v53, 0x3b9c, v42
	v_fmac_f16_e32 v42, 0xbb9c, v53
	v_fmac_f16_e32 v48, 0x34f2, v17
	;; [unrolled: 1-line block ×3, first 2 shown]
	v_lshlrev_b32_sdwa v172, v97, v18 dst_sel:DWORD dst_unused:UNUSED_PAD src0_sel:DWORD src1_sel:WORD_0
	v_fmac_f16_e32 v7, 0xb8b4, v51
	v_fmac_f16_e32 v42, 0x38b4, v51
	v_lshrrev_b32_e32 v10, 16, v45
	v_pack_b32_f16 v48, v48, v52
	v_lshrrev_b32_e32 v18, 16, v47
	v_fmac_f16_e32 v7, 0x34f2, v6
	v_fmac_f16_e32 v42, 0x34f2, v6
	v_mul_f16_sdwa v11, v10, v103 dst_sel:DWORD dst_unused:UNUSED_PAD src0_sel:DWORD src1_sel:WORD_1
	ds_write2_b32 v172, v40, v48 offset1:3
	v_mul_f16_sdwa v40, v18, v104 dst_sel:DWORD dst_unused:UNUSED_PAD src0_sel:DWORD src1_sel:WORD_1
	v_pack_b32_f16 v3, v3, v7
	v_pack_b32_f16 v0, v0, v42
	v_lshrrev_b32_e32 v7, 16, v43
	v_mul_f16_sdwa v6, v41, v101 dst_sel:DWORD dst_unused:UNUSED_PAD src0_sel:DWORD src1_sel:WORD_1
	v_mul_f16_sdwa v9, v43, v102 dst_sel:DWORD dst_unused:UNUSED_PAD src0_sel:DWORD src1_sel:WORD_1
	v_fma_f16 v11, v45, v103, -v11
	ds_write2_b32 v172, v3, v0 offset0:6 offset1:9
	v_lshrrev_b32_e32 v0, 16, v41
	v_mul_f16_sdwa v8, v7, v102 dst_sel:DWORD dst_unused:UNUSED_PAD src0_sel:DWORD src1_sel:WORD_1
	v_fma_f16 v40, v47, v104, -v40
	v_mul_f16_sdwa v16, v45, v103 dst_sel:DWORD dst_unused:UNUSED_PAD src0_sel:DWORD src1_sel:WORD_1
	v_fmac_f16_e32 v9, v7, v102
	v_mul_f16_sdwa v3, v0, v101 dst_sel:DWORD dst_unused:UNUSED_PAD src0_sel:DWORD src1_sel:WORD_1
	v_fma_f16 v8, v43, v102, -v8
	v_fmac_f16_e32 v6, v0, v101
	v_fmac_f16_e32 v16, v10, v103
	v_lshrrev_b32_e32 v10, 16, v1
	v_fma_f16 v3, v41, v101, -v3
	v_mul_f16_sdwa v41, v47, v104 dst_sel:DWORD dst_unused:UNUSED_PAD src0_sel:DWORD src1_sel:WORD_1
	v_add_f16_e32 v0, v8, v11
	v_sub_f16_e32 v42, v11, v40
	v_add_f16_e32 v45, v10, v6
	v_add_f16_e32 v7, v3, v40
	v_fmac_f16_e32 v41, v18, v104
	v_fma_f16 v0, -0.5, v0, v1
	v_add_f16_e32 v18, v1, v3
	v_sub_f16_e32 v54, v8, v11
	v_fmac_f16_e32 v1, -0.5, v7
	v_sub_f16_e32 v7, v8, v3
	v_add_f16_e32 v43, v6, v41
	v_sub_f16_e32 v47, v16, v41
	v_sub_f16_e32 v52, v6, v41
	v_sub_f16_e32 v56, v3, v40
	v_add_f16_e32 v7, v7, v42
	v_add_f16_e32 v42, v9, v16
	v_sub_f16_e32 v3, v3, v8
	v_fmac_f16_e32 v44, 0xbb9c, v46
	v_fmac_f16_e32 v50, 0x3b9c, v51
	v_lshlrev_b32_sdwa v175, v97, v4 dst_sel:DWORD dst_unused:UNUSED_PAD src0_sel:DWORD src1_sel:WORD_0
	v_fma_f16 v42, -0.5, v42, v10
	v_fmac_f16_e32 v10, -0.5, v43
	v_sub_f16_e32 v43, v9, v6
	v_sub_f16_e32 v6, v6, v9
	v_fmac_f16_e32 v44, 0xb8b4, v49
	v_fmac_f16_e32 v50, 0x38b4, v53
	v_fmamk_f16 v55, v54, 0x3b9c, v10
	v_add_f16_e32 v43, v43, v47
	v_sub_f16_e32 v47, v9, v16
	v_fmac_f16_e32 v10, 0xbb9c, v54
	v_fmac_f16_e32 v44, 0x34f2, v17
	;; [unrolled: 1-line block ×4, first 2 shown]
	v_fmamk_f16 v48, v47, 0xbb9c, v1
	v_fmac_f16_e32 v1, 0x3b9c, v47
	v_fmac_f16_e32 v10, 0x38b4, v56
	;; [unrolled: 1-line block ×3, first 2 shown]
	v_pack_b32_f16 v5, v44, v50
	v_fmac_f16_e32 v48, 0x38b4, v52
	v_fmac_f16_e32 v1, 0xb8b4, v52
	;; [unrolled: 1-line block ×3, first 2 shown]
	ds_write_b32 v172, v5 offset:48
	v_fmac_f16_e32 v48, 0x34f2, v7
	v_fmac_f16_e32 v1, 0x34f2, v7
	v_pack_b32_f16 v4, v48, v55
	v_pack_b32_f16 v1, v1, v10
	v_add_f16_e32 v10, v18, v8
	ds_write2_b32 v175, v4, v1 offset0:6 offset1:9
	v_add_f16_e32 v8, v10, v11
	v_sub_f16_e32 v10, v40, v11
	v_add_f16_e32 v11, v45, v9
	v_mul_lo_u16 v1, 0x89, v71
	v_add_f16_e32 v8, v8, v40
	v_add_f16_e32 v3, v3, v10
	;; [unrolled: 1-line block ×3, first 2 shown]
	v_sub_f16_e32 v11, v41, v16
	v_fmamk_f16 v10, v56, 0xbb9c, v42
	v_fmac_f16_e32 v42, 0x3b9c, v56
	v_add_f16_e32 v9, v9, v41
	v_add_f16_e32 v6, v6, v11
	v_fmac_f16_e32 v10, 0xb8b4, v54
	v_fmac_f16_e32 v42, 0x38b4, v54
	v_lshrrev_b16 v11, 11, v1
	v_pack_b32_f16 v8, v8, v9
	v_fmamk_f16 v9, v52, 0x3b9c, v0
	v_fmac_f16_e32 v0, 0xbb9c, v52
	v_fmac_f16_e32 v42, 0x34f2, v6
	;; [unrolled: 1-line block ×7, first 2 shown]
	v_pack_b32_f16 v9, v9, v10
	v_pack_b32_f16 v0, v0, v42
	ds_write2_b32 v175, v8, v9 offset1:3
	ds_write_b32 v175, v0 offset:48
	v_mul_lo_u16 v0, 0x89, v2
	v_mul_lo_u16 v2, v11, 15
	s_waitcnt lgkmcnt(0)
	s_waitcnt_vscnt null, 0x0
	s_barrier
	buffer_gl0_inv
	v_lshrrev_b16 v0, 11, v0
	v_sub_nc_u16 v2, v118, v2
	v_mul_lo_u16 v1, v0, 15
	v_and_b32_e32 v90, 0xff, v2
	v_mul_u32_u24_sdwa v0, v0, v151 dst_sel:DWORD dst_unused:UNUSED_PAD src0_sel:WORD_0 src1_sel:DWORD
	v_sub_nc_u16 v1, v126, v1
	v_lshlrev_b32_e32 v5, 4, v90
	v_and_b32_e32 v9, 0xff, v1
	ds_read2_b32 v[1:2], v128 offset0:110 offset1:235
	v_lshlrev_b32_e32 v3, 4, v9
	s_clause 0x1
	global_load_dwordx4 v[52:55], v3, s[2:3] offset:48
	global_load_dwordx4 v[44:47], v5, s[2:3] offset:48
	v_add_lshl_u32 v176, v0, v9, 2
	s_waitcnt lgkmcnt(0)
	v_lshrrev_b32_e32 v4, 16, v1
	s_waitcnt vmcnt(1)
	v_mul_f16_sdwa v91, v1, v52 dst_sel:DWORD dst_unused:UNUSED_PAD src0_sel:DWORD src1_sel:WORD_1
	v_mul_f16_sdwa v10, v4, v52 dst_sel:DWORD dst_unused:UNUSED_PAD src0_sel:DWORD src1_sel:WORD_1
	v_fmac_f16_e32 v91, v4, v52
	ds_read2_b32 v[3:4], v70 offset0:92 offset1:217
	v_fma_f16 v95, v1, v52, -v10
	s_waitcnt lgkmcnt(0)
	v_lshrrev_b32_e32 v5, 16, v3
	v_mul_f16_sdwa v92, v3, v53 dst_sel:DWORD dst_unused:UNUSED_PAD src0_sel:DWORD src1_sel:WORD_1
	v_mul_f16_sdwa v16, v5, v53 dst_sel:DWORD dst_unused:UNUSED_PAD src0_sel:DWORD src1_sel:WORD_1
	v_fmac_f16_e32 v92, v5, v53
	ds_read2_b32 v[5:6], v98 offset0:74 offset1:199
	v_fma_f16 v3, v3, v53, -v16
	v_mov_b32_e32 v16, 0x8889
	v_sub_f16_e32 v1, v95, v3
	s_waitcnt lgkmcnt(0)
	v_lshrrev_b32_e32 v7, 16, v5
	v_mul_f16_sdwa v93, v5, v54 dst_sel:DWORD dst_unused:UNUSED_PAD src0_sel:DWORD src1_sel:WORD_1
	v_mul_f16_sdwa v17, v7, v54 dst_sel:DWORD dst_unused:UNUSED_PAD src0_sel:DWORD src1_sel:WORD_1
	v_fmac_f16_e32 v93, v7, v54
	ds_read2_b32 v[7:8], v120 offset0:56 offset1:181
	v_fma_f16 v5, v5, v54, -v17
	v_sub_f16_e32 v179, v92, v93
	v_sub_f16_e32 v182, v3, v5
	s_waitcnt lgkmcnt(0)
	v_lshrrev_b32_e32 v18, 16, v7
	v_mul_f16_sdwa v94, v7, v55 dst_sel:DWORD dst_unused:UNUSED_PAD src0_sel:DWORD src1_sel:WORD_1
	v_fmac_f16_e32 v94, v18, v55
	v_mul_f16_sdwa v18, v18, v55 dst_sel:DWORD dst_unused:UNUSED_PAD src0_sel:DWORD src1_sel:WORD_1
	v_sub_f16_e32 v178, v91, v94
	v_fma_f16 v7, v7, v55, -v18
	v_mul_u32_u24_sdwa v18, v121, v16 dst_sel:DWORD dst_unused:UNUSED_PAD src0_sel:WORD_0 src1_sel:DWORD
	v_sub_f16_e32 v10, v7, v5
	v_sub_f16_e32 v181, v95, v7
	v_lshrrev_b32_e32 v190, 19, v18
	v_mul_u32_u24_sdwa v18, v119, v16 dst_sel:DWORD dst_unused:UNUSED_PAD src0_sel:WORD_0 src1_sel:DWORD
	v_add_f16_e32 v99, v1, v10
	v_sub_f16_e32 v1, v91, v92
	v_sub_f16_e32 v10, v94, v93
	v_lshrrev_b32_e32 v191, 19, v18
	v_mul_lo_u16 v18, v190, 15
	v_add_f16_e32 v100, v1, v10
	ds_read2_b32 v[0:1], v144 offset1:125
	v_sub_nc_u16 v192, v121, v18
	v_mul_lo_u16 v18, v191, 15
	v_sub_nc_u16 v193, v119, v18
	v_lshlrev_b16 v18, 4, v192
	v_lshlrev_b16 v19, 4, v193
	v_and_b32_e32 v18, 0xffff, v18
	v_and_b32_e32 v40, 0xffff, v19
	s_waitcnt lgkmcnt(0)
	v_lshrrev_b32_e32 v173, 16, v0
	v_add_f16_e32 v9, v0, v95
	v_add_f16_e32 v10, v173, v91
	v_add_f16_e32 v9, v9, v3
	v_add_f16_e32 v10, v10, v92
	v_add_f16_e32 v9, v9, v5
	v_add_f16_e32 v10, v10, v93
	v_add_f16_e32 v9, v9, v7
	v_add_f16_e32 v10, v10, v94
	v_pack_b32_f16 v174, v9, v10
	v_add_f16_e32 v9, v3, v5
	v_add_f16_e32 v10, v92, v93
	v_sub_f16_e32 v5, v5, v7
	v_add_f16_e32 v7, v95, v7
	v_sub_f16_e32 v3, v3, v95
	v_fma_f16 v177, -0.5, v9, v0
	v_fma_f16 v180, -0.5, v10, v173
	;; [unrolled: 1-line block ×3, first 2 shown]
	v_add_f16_e32 v3, v3, v5
	v_fmamk_f16 v9, v178, 0x3b9c, v177
	v_fmamk_f16 v10, v181, 0xbb9c, v180
	v_add_f16_e32 v5, v91, v94
	v_fmamk_f16 v7, v179, 0xbb9c, v0
	v_fmac_f16_e32 v0, 0x3b9c, v179
	v_fmac_f16_e32 v9, 0x38b4, v179
	;; [unrolled: 1-line block ×3, first 2 shown]
	v_fmac_f16_e32 v173, -0.5, v5
	v_sub_f16_e32 v5, v92, v91
	v_fmac_f16_e32 v7, 0x38b4, v178
	v_fmac_f16_e32 v9, 0x34f2, v99
	;; [unrolled: 1-line block ×7, first 2 shown]
	v_pack_b32_f16 v183, v9, v10
	v_mul_u32_u24_sdwa v9, v77, v16 dst_sel:DWORD dst_unused:UNUSED_PAD src0_sel:WORD_0 src1_sel:DWORD
	v_fmac_f16_e32 v0, 0x34f2, v3
	v_fmac_f16_e32 v177, 0xb8b4, v179
	;; [unrolled: 1-line block ×3, first 2 shown]
	v_lshrrev_b32_e32 v184, 19, v9
	v_fmac_f16_e32 v177, 0x34f2, v99
	v_fmac_f16_e32 v180, 0x34f2, v100
	v_mul_lo_u16 v9, v184, 15
	v_sub_nc_u16 v185, v77, v9
	v_mul_u32_u24_sdwa v9, v122, v16 dst_sel:DWORD dst_unused:UNUSED_PAD src0_sel:WORD_0 src1_sel:DWORD
	v_lshrrev_b32_e32 v186, 19, v9
	v_lshlrev_b16 v9, 4, v185
	v_mul_lo_u16 v10, v186, 15
	v_and_b32_e32 v9, 0xffff, v9
	v_sub_nc_u16 v187, v122, v10
	v_add_co_u32 v9, s0, s2, v9
	v_add_co_ci_u32_e64 v10, null, s3, 0, s0
	v_lshlrev_b16 v17, 4, v187
	global_load_dwordx4 v[60:63], v[9:10], off offset:48
	ds_read2_b32 v[9:10], v137 offset0:122 offset1:247
	ds_read2_b32 v[64:65], v125 offset0:104 offset1:229
	ds_read2_b32 v[72:73], v167 offset0:86 offset1:211
	ds_read2_b32 v[74:75], v135 offset0:68 offset1:193
	ds_read2_b32 v[78:79], v168 offset0:50 offset1:175
	ds_read2_b32 v[80:81], v124 offset0:116 offset1:241
	ds_read2_b32 v[82:83], v127 offset0:98 offset1:223
	ds_read2_b32 v[84:85], v166 offset0:80 offset1:205
	ds_read2_b32 v[86:87], v139 offset0:62 offset1:187
	ds_read2_b32 v[88:89], v146 offset0:44 offset1:169
	v_and_b32_e32 v17, 0xffff, v17
	v_add_co_u32 v16, s0, s2, v17
	v_add_co_ci_u32_e64 v17, null, s3, 0, s0
	v_add_co_u32 v18, s0, s2, v18
	v_add_co_ci_u32_e64 v19, null, s3, 0, s0
	;; [unrolled: 2-line block ×3, first 2 shown]
	s_clause 0x2
	global_load_dwordx4 v[56:59], v[16:17], off offset:48
	global_load_dwordx4 v[48:51], v[18:19], off offset:48
	;; [unrolled: 1-line block ×3, first 2 shown]
	v_sub_f16_e32 v16, v93, v94
	s_waitcnt vmcnt(0) lgkmcnt(0)
	s_barrier
	buffer_gl0_inv
	v_lshrrev_b32_e32 v17, 16, v8
	v_add_f16_e32 v3, v5, v16
	v_fmamk_f16 v5, v182, 0x3b9c, v173
	v_fmac_f16_e32 v173, 0xbb9c, v182
	v_lshrrev_b32_e32 v19, 16, v1
	v_mul_f16_sdwa v18, v17, v47 dst_sel:DWORD dst_unused:UNUSED_PAD src0_sel:DWORD src1_sel:WORD_1
	ds_write2_b32 v176, v174, v183 offset1:15
	v_fmac_f16_e32 v5, 0xb8b4, v181
	v_fmac_f16_e32 v173, 0x38b4, v181
	v_fma_f16 v18, v8, v47, -v18
	v_mul_f16_sdwa v8, v8, v47 dst_sel:DWORD dst_unused:UNUSED_PAD src0_sel:DWORD src1_sel:WORD_1
	v_fmac_f16_e32 v5, 0x34f2, v3
	v_fmac_f16_e32 v173, 0x34f2, v3
	;; [unrolled: 1-line block ×3, first 2 shown]
	v_pack_b32_f16 v3, v7, v5
	v_pack_b32_f16 v0, v0, v173
	v_lshrrev_b32_e32 v7, 16, v6
	ds_write2_b32 v176, v3, v0 offset0:30 offset1:45
	v_lshrrev_b32_e32 v0, 16, v2
	v_mul_f16_sdwa v16, v7, v46 dst_sel:DWORD dst_unused:UNUSED_PAD src0_sel:DWORD src1_sel:WORD_1
	v_mul_f16_sdwa v3, v0, v44 dst_sel:DWORD dst_unused:UNUSED_PAD src0_sel:DWORD src1_sel:WORD_1
	v_fma_f16 v16, v6, v46, -v16
	v_mul_f16_sdwa v6, v6, v46 dst_sel:DWORD dst_unused:UNUSED_PAD src0_sel:DWORD src1_sel:WORD_1
	v_fma_f16 v3, v2, v44, -v3
	v_mul_f16_sdwa v2, v2, v44 dst_sel:DWORD dst_unused:UNUSED_PAD src0_sel:DWORD src1_sel:WORD_1
	v_fmac_f16_e32 v6, v7, v46
	v_sub_f16_e32 v7, v18, v16
	v_sub_f16_e32 v95, v3, v18
	v_fmac_f16_e32 v2, v0, v44
	v_lshrrev_b32_e32 v0, 16, v4
	v_sub_f16_e32 v17, v8, v6
	v_sub_f16_e32 v91, v2, v8
	v_mul_f16_sdwa v5, v0, v45 dst_sel:DWORD dst_unused:UNUSED_PAD src0_sel:DWORD src1_sel:WORD_1
	v_fma_f16 v5, v4, v45, -v5
	v_mul_f16_sdwa v4, v4, v45 dst_sel:DWORD dst_unused:UNUSED_PAD src0_sel:DWORD src1_sel:WORD_1
	v_sub_f16_e32 v100, v5, v16
	v_fmac_f16_e32 v4, v0, v45
	v_sub_f16_e32 v0, v3, v5
	v_add_f16_e32 v94, v4, v6
	v_add_f16_e32 v0, v0, v7
	v_mul_u32_u24_sdwa v7, v11, v151 dst_sel:DWORD dst_unused:UNUSED_PAD src0_sel:WORD_0 src1_sel:DWORD
	v_sub_f16_e32 v11, v2, v4
	v_sub_f16_e32 v93, v4, v6
	v_fma_f16 v94, -0.5, v94, v19
	v_add_lshl_u32 v183, v7, v90, 2
	v_add_f16_e32 v7, v1, v3
	v_add_f16_e32 v90, v19, v2
	v_fmamk_f16 v99, v95, 0xbb9c, v94
	v_add_f16_e32 v11, v11, v17
	v_pack_b32_f16 v17, v177, v180
	v_add_f16_e32 v7, v7, v5
	v_add_f16_e32 v90, v90, v4
	v_fmac_f16_e32 v99, 0xb8b4, v100
	v_sub_f16_e32 v4, v4, v2
	v_add_f16_e32 v2, v2, v8
	v_add_f16_e32 v7, v7, v16
	;; [unrolled: 1-line block ×3, first 2 shown]
	v_fmac_f16_e32 v99, 0x34f2, v11
	v_sub_f16_e32 v6, v6, v8
	v_fmac_f16_e32 v19, -0.5, v2
	v_add_f16_e32 v7, v7, v18
	v_add_f16_e32 v90, v90, v8
	v_fmac_f16_e32 v94, 0x3b9c, v95
	v_pack_b32_f16 v7, v7, v90
	v_add_f16_e32 v90, v5, v16
	v_sub_f16_e32 v5, v5, v3
	v_add_f16_e32 v3, v3, v18
	v_fmac_f16_e32 v94, 0x38b4, v100
	v_fma_f16 v90, -0.5, v90, v1
	v_fmac_f16_e32 v1, -0.5, v3
	v_add_f16_e32 v3, v4, v6
	v_lshrrev_b32_e32 v6, 16, v78
	v_fmamk_f16 v92, v91, 0x3b9c, v90
	v_fmac_f16_e32 v90, 0xbb9c, v91
	v_fmamk_f16 v4, v93, 0xbb9c, v1
	v_fmac_f16_e32 v1, 0x3b9c, v93
	v_fmac_f16_e32 v94, 0x34f2, v11
	;; [unrolled: 1-line block ×8, first 2 shown]
	v_lshrrev_b32_e32 v0, 16, v64
	v_pack_b32_f16 v92, v92, v99
	ds_write_b32 v176, v17 offset:240
	ds_write2_b32 v183, v7, v92 offset1:15
	v_sub_f16_e32 v7, v16, v18
	v_lshrrev_b32_e32 v18, 16, v9
	v_add_f16_e32 v2, v5, v7
	v_fmamk_f16 v5, v100, 0x3b9c, v19
	v_fmac_f16_e32 v19, 0xbb9c, v100
	v_fmac_f16_e32 v1, 0x34f2, v2
	;; [unrolled: 1-line block ×7, first 2 shown]
	v_pack_b32_f16 v2, v4, v5
	v_pack_b32_f16 v1, v1, v19
	v_lshrrev_b32_e32 v4, 16, v74
	ds_write2_b32 v183, v2, v1 offset0:30 offset1:45
	v_lshrrev_b32_e32 v2, 16, v72
	v_mul_f16_sdwa v1, v64, v60 dst_sel:DWORD dst_unused:UNUSED_PAD src0_sel:DWORD src1_sel:WORD_1
	v_mul_f16_sdwa v3, v72, v61 dst_sel:DWORD dst_unused:UNUSED_PAD src0_sel:DWORD src1_sel:WORD_1
	;; [unrolled: 1-line block ×4, first 2 shown]
	v_fmac_f16_e32 v1, v0, v60
	v_mul_f16_sdwa v0, v0, v60 dst_sel:DWORD dst_unused:UNUSED_PAD src0_sel:DWORD src1_sel:WORD_1
	v_fmac_f16_e32 v3, v2, v61
	v_fmac_f16_e32 v5, v4, v62
	;; [unrolled: 1-line block ×3, first 2 shown]
	v_mul_f16_sdwa v2, v2, v61 dst_sel:DWORD dst_unused:UNUSED_PAD src0_sel:DWORD src1_sel:WORD_1
	v_fma_f16 v0, v64, v60, -v0
	v_sub_f16_e32 v16, v1, v3
	v_mul_f16_sdwa v4, v4, v62 dst_sel:DWORD dst_unused:UNUSED_PAD src0_sel:DWORD src1_sel:WORD_1
	v_sub_f16_e32 v17, v7, v5
	v_fma_f16 v2, v72, v61, -v2
	v_add_f16_e32 v19, v18, v1
	v_mul_f16_sdwa v6, v6, v63 dst_sel:DWORD dst_unused:UNUSED_PAD src0_sel:DWORD src1_sel:WORD_1
	v_fma_f16 v4, v74, v62, -v4
	v_add_f16_e32 v16, v16, v17
	v_add_f16_e32 v17, v9, v0
	v_add_f16_e32 v19, v19, v3
	v_fma_f16 v6, v78, v63, -v6
	v_sub_f16_e32 v8, v0, v2
	v_sub_f16_e32 v92, v2, v4
	v_add_f16_e32 v17, v17, v2
	v_add_f16_e32 v19, v19, v5
	v_sub_f16_e32 v11, v6, v4
	v_sub_f16_e32 v74, v3, v5
	v_add_f16_e32 v78, v3, v5
	v_add_f16_e32 v17, v17, v4
	;; [unrolled: 1-line block ×4, first 2 shown]
	v_pack_b32_f16 v11, v90, v94
	v_sub_f16_e32 v90, v0, v6
	v_add_f16_e32 v17, v17, v6
	v_sub_f16_e32 v64, v1, v7
	v_fma_f16 v78, -0.5, v78, v18
	ds_write_b32 v183, v11 offset:240
	v_mad_u16 v11, 0x4b, v184, v185
	v_pack_b32_f16 v17, v17, v19
	v_add_f16_e32 v19, v2, v4
	v_sub_f16_e32 v2, v2, v0
	v_sub_f16_e32 v4, v4, v6
	v_add_f16_e32 v0, v0, v6
	v_fmamk_f16 v91, v90, 0xbb9c, v78
	v_fma_f16 v19, -0.5, v19, v9
	v_lshlrev_b32_sdwa v188, v97, v11 dst_sel:DWORD dst_unused:UNUSED_PAD src0_sel:DWORD src1_sel:WORD_0
	v_add_f16_e32 v2, v2, v4
	v_add_f16_e32 v4, v1, v7
	v_fma_f16 v0, -0.5, v0, v9
	v_sub_f16_e32 v1, v3, v1
	v_sub_f16_e32 v3, v5, v7
	v_fmamk_f16 v72, v64, 0x3b9c, v19
	v_fmac_f16_e32 v18, -0.5, v4
	v_fmamk_f16 v4, v74, 0xbb9c, v0
	v_fmac_f16_e32 v0, 0x3b9c, v74
	v_add_f16_e32 v1, v1, v3
	v_fmac_f16_e32 v72, 0x38b4, v74
	v_fmac_f16_e32 v91, 0xb8b4, v92
	;; [unrolled: 1-line block ×4, first 2 shown]
	v_lshrrev_b32_e32 v5, 16, v75
	v_fmac_f16_e32 v72, 0x34f2, v8
	v_fmac_f16_e32 v91, 0x34f2, v16
	;; [unrolled: 1-line block ×4, first 2 shown]
	v_fmamk_f16 v2, v92, 0x3b9c, v18
	v_fmac_f16_e32 v18, 0xbb9c, v92
	v_pack_b32_f16 v72, v72, v91
	v_mul_f16_sdwa v7, v75, v58 dst_sel:DWORD dst_unused:UNUSED_PAD src0_sel:DWORD src1_sel:WORD_1
	v_fmac_f16_e32 v19, 0xbb9c, v64
	v_fmac_f16_e32 v2, 0xb8b4, v90
	;; [unrolled: 1-line block ×3, first 2 shown]
	ds_write2_b32 v188, v17, v72 offset1:15
	v_fmac_f16_e32 v78, 0x3b9c, v90
	v_lshrrev_b32_e32 v9, 16, v79
	v_fmac_f16_e32 v2, 0x34f2, v1
	v_fmac_f16_e32 v18, 0x34f2, v1
	v_mul_f16_sdwa v17, v79, v59 dst_sel:DWORD dst_unused:UNUSED_PAD src0_sel:DWORD src1_sel:WORD_1
	v_fmac_f16_e32 v19, 0xb8b4, v74
	v_fmac_f16_e32 v78, 0x38b4, v92
	v_pack_b32_f16 v1, v4, v2
	v_pack_b32_f16 v0, v0, v18
	v_mul_f16_sdwa v2, v65, v56 dst_sel:DWORD dst_unused:UNUSED_PAD src0_sel:DWORD src1_sel:WORD_1
	v_mul_f16_sdwa v4, v73, v57 dst_sel:DWORD dst_unused:UNUSED_PAD src0_sel:DWORD src1_sel:WORD_1
	v_fmac_f16_e32 v7, v5, v58
	v_fmac_f16_e32 v17, v9, v59
	ds_write2_b32 v188, v1, v0 offset0:30 offset1:45
	v_lshrrev_b32_e32 v0, 16, v65
	v_mul_f16_sdwa v11, v9, v59 dst_sel:DWORD dst_unused:UNUSED_PAD src0_sel:DWORD src1_sel:WORD_1
	v_fmac_f16_e32 v19, 0x34f2, v8
	v_fmac_f16_e32 v78, 0x34f2, v16
	v_sub_f16_e32 v9, v17, v7
	v_mul_f16_sdwa v1, v0, v56 dst_sel:DWORD dst_unused:UNUSED_PAD src0_sel:DWORD src1_sel:WORD_1
	v_fmac_f16_e32 v2, v0, v56
	v_lshrrev_b32_e32 v0, 16, v73
	v_lshrrev_b32_e32 v16, 16, v10
	v_mul_f16_sdwa v6, v5, v58 dst_sel:DWORD dst_unused:UNUSED_PAD src0_sel:DWORD src1_sel:WORD_1
	v_fma_f16 v1, v65, v56, -v1
	v_fma_f16 v11, v79, v59, -v11
	v_fmac_f16_e32 v4, v0, v57
	v_mul_f16_sdwa v3, v0, v57 dst_sel:DWORD dst_unused:UNUSED_PAD src0_sel:DWORD src1_sel:WORD_1
	v_add_f16_e32 v18, v16, v2
	v_fma_f16 v6, v75, v58, -v6
	v_sub_f16_e32 v8, v2, v4
	v_fma_f16 v3, v73, v57, -v3
	v_add_f16_e32 v18, v18, v4
	v_sub_f16_e32 v5, v11, v6
	v_sub_f16_e32 v65, v4, v7
	v_add_f16_e32 v8, v8, v9
	v_add_f16_e32 v9, v10, v1
	v_sub_f16_e32 v0, v1, v3
	v_add_f16_e32 v18, v18, v7
	v_add_f16_e32 v72, v4, v7
	;; [unrolled: 3-line block ×3, first 2 shown]
	v_pack_b32_f16 v5, v19, v78
	v_add_f16_e32 v18, v18, v17
	v_sub_f16_e32 v19, v2, v17
	v_add_f16_e32 v9, v9, v6
	v_sub_f16_e32 v75, v3, v6
	ds_write_b32 v188, v5 offset:240
	v_mad_u16 v5, 0x4b, v186, v187
	v_sub_f16_e32 v4, v4, v2
	v_add_f16_e32 v9, v9, v11
	v_add_f16_e32 v2, v2, v17
	v_fma_f16 v72, -0.5, v72, v16
	v_lshlrev_b32_sdwa v189, v97, v5 dst_sel:DWORD dst_unused:UNUSED_PAD src0_sel:DWORD src1_sel:WORD_0
	v_sub_f16_e32 v5, v6, v11
	v_pack_b32_f16 v9, v9, v18
	v_add_f16_e32 v18, v3, v6
	v_sub_f16_e32 v3, v3, v1
	v_add_f16_e32 v1, v1, v11
	v_sub_f16_e32 v6, v7, v17
	v_fmac_f16_e32 v16, -0.5, v2
	v_fma_f16 v18, -0.5, v18, v10
	v_mul_f16_sdwa v7, v88, v51 dst_sel:DWORD dst_unused:UNUSED_PAD src0_sel:DWORD src1_sel:WORD_1
	v_fmac_f16_e32 v10, -0.5, v1
	v_add_f16_e32 v1, v3, v5
	v_add_f16_e32 v2, v4, v6
	v_fmamk_f16 v4, v75, 0x3b9c, v16
	v_fmac_f16_e32 v16, 0xbb9c, v75
	v_fmamk_f16 v3, v65, 0xbb9c, v10
	v_fmac_f16_e32 v10, 0x3b9c, v65
	;; [unrolled: 2-line block ×3, first 2 shown]
	v_fmac_f16_e32 v16, 0x38b4, v73
	v_fmac_f16_e32 v3, 0x38b4, v19
	;; [unrolled: 1-line block ×10, first 2 shown]
	v_lshrrev_b32_e32 v2, 16, v84
	v_pack_b32_f16 v1, v3, v4
	v_pack_b32_f16 v5, v10, v16
	v_fmac_f16_e32 v64, 0x34f2, v0
	v_fmac_f16_e32 v18, 0x34f2, v0
	v_lshrrev_b32_e32 v0, 16, v82
	v_mul_f16_sdwa v3, v84, v49 dst_sel:DWORD dst_unused:UNUSED_PAD src0_sel:DWORD src1_sel:WORD_1
	ds_write2_b32 v189, v1, v5 offset0:30 offset1:45
	v_mul_f16_sdwa v1, v82, v48 dst_sel:DWORD dst_unused:UNUSED_PAD src0_sel:DWORD src1_sel:WORD_1
	v_lshrrev_b32_e32 v4, 16, v86
	v_mul_f16_sdwa v5, v86, v50 dst_sel:DWORD dst_unused:UNUSED_PAD src0_sel:DWORD src1_sel:WORD_1
	v_lshrrev_b32_e32 v6, 16, v88
	v_fmac_f16_e32 v3, v2, v49
	v_fmac_f16_e32 v1, v0, v48
	v_mul_f16_sdwa v0, v0, v48 dst_sel:DWORD dst_unused:UNUSED_PAD src0_sel:DWORD src1_sel:WORD_1
	v_fmac_f16_e32 v5, v4, v50
	v_fmac_f16_e32 v7, v6, v51
	v_fmamk_f16 v74, v73, 0xbb9c, v72
	v_mul_f16_sdwa v2, v2, v49 dst_sel:DWORD dst_unused:UNUSED_PAD src0_sel:DWORD src1_sel:WORD_1
	v_fma_f16 v0, v82, v48, -v0
	v_sub_f16_e32 v10, v1, v3
	v_sub_f16_e32 v11, v7, v5
	v_lshrrev_b32_e32 v16, 16, v80
	v_fmac_f16_e32 v74, 0xb8b4, v75
	v_mul_f16_sdwa v4, v4, v50 dst_sel:DWORD dst_unused:UNUSED_PAD src0_sel:DWORD src1_sel:WORD_1
	v_fma_f16 v2, v84, v49, -v2
	v_add_f16_e32 v10, v10, v11
	v_add_f16_e32 v11, v80, v0
	;; [unrolled: 1-line block ×3, first 2 shown]
	v_fmac_f16_e32 v74, 0x34f2, v8
	v_fmac_f16_e32 v72, 0x3b9c, v73
	v_mul_f16_sdwa v6, v6, v51 dst_sel:DWORD dst_unused:UNUSED_PAD src0_sel:DWORD src1_sel:WORD_1
	v_fma_f16 v4, v86, v50, -v4
	v_add_f16_e32 v11, v11, v2
	v_add_f16_e32 v17, v17, v3
	v_pack_b32_f16 v64, v64, v74
	v_fmac_f16_e32 v72, 0x38b4, v75
	v_fma_f16 v6, v88, v51, -v6
	v_add_f16_e32 v11, v11, v4
	v_add_f16_e32 v17, v17, v5
	ds_write2_b32 v189, v9, v64 offset1:15
	v_fmac_f16_e32 v72, 0x34f2, v8
	v_sub_f16_e32 v8, v0, v2
	v_sub_f16_e32 v9, v6, v4
	v_add_f16_e32 v11, v11, v6
	v_add_f16_e32 v17, v17, v7
	v_sub_f16_e32 v74, v2, v4
	v_sub_f16_e32 v64, v3, v5
	v_add_f16_e32 v8, v8, v9
	v_pack_b32_f16 v9, v18, v72
	v_pack_b32_f16 v11, v11, v17
	v_add_f16_e32 v17, v2, v4
	v_sub_f16_e32 v72, v0, v6
	v_sub_f16_e32 v2, v2, v0
	;; [unrolled: 1-line block ×3, first 2 shown]
	v_add_f16_e32 v0, v0, v6
	v_add_f16_e32 v65, v3, v5
	v_sub_f16_e32 v18, v1, v7
	v_fma_f16 v17, -0.5, v17, v80
	v_add_f16_e32 v2, v2, v4
	v_add_f16_e32 v4, v1, v7
	v_fma_f16 v0, -0.5, v0, v80
	v_fma_f16 v65, -0.5, v65, v16
	v_sub_f16_e32 v1, v3, v1
	v_sub_f16_e32 v3, v5, v7
	v_fmac_f16_e32 v16, -0.5, v4
	v_fmamk_f16 v4, v64, 0xbb9c, v0
	v_fmac_f16_e32 v0, 0x3b9c, v64
	ds_write_b32 v189, v9 offset:240
	v_add_f16_e32 v1, v1, v3
	v_mad_u16 v9, 0x4b, v190, v192
	v_fmac_f16_e32 v4, 0x38b4, v18
	v_fmac_f16_e32 v0, 0xb8b4, v18
	v_fmamk_f16 v19, v18, 0x3b9c, v17
	v_fmamk_f16 v73, v72, 0xbb9c, v65
	v_lshlrev_b32_sdwa v184, v97, v9 dst_sel:DWORD dst_unused:UNUSED_PAD src0_sel:DWORD src1_sel:WORD_0
	v_fmac_f16_e32 v4, 0x34f2, v2
	v_fmac_f16_e32 v0, 0x34f2, v2
	v_fmamk_f16 v2, v74, 0x3b9c, v16
	v_fmac_f16_e32 v16, 0xbb9c, v74
	v_fmac_f16_e32 v19, 0x38b4, v64
	;; [unrolled: 1-line block ×3, first 2 shown]
	v_lshrrev_b32_e32 v5, 16, v87
	v_fmac_f16_e32 v2, 0xb8b4, v72
	v_fmac_f16_e32 v16, 0x38b4, v72
	;; [unrolled: 1-line block ×4, first 2 shown]
	v_lshrrev_b32_e32 v9, 16, v89
	v_fmac_f16_e32 v2, 0x34f2, v1
	v_fmac_f16_e32 v16, 0x34f2, v1
	v_mul_f16_sdwa v6, v5, v42 dst_sel:DWORD dst_unused:UNUSED_PAD src0_sel:DWORD src1_sel:WORD_1
	v_pack_b32_f16 v19, v19, v73
	v_mul_f16_sdwa v7, v87, v42 dst_sel:DWORD dst_unused:UNUSED_PAD src0_sel:DWORD src1_sel:WORD_1
	v_pack_b32_f16 v1, v4, v2
	v_pack_b32_f16 v0, v0, v16
	v_mul_f16_sdwa v2, v83, v40 dst_sel:DWORD dst_unused:UNUSED_PAD src0_sel:DWORD src1_sel:WORD_1
	ds_write2_b32 v184, v11, v19 offset1:15
	v_mul_f16_sdwa v4, v85, v41 dst_sel:DWORD dst_unused:UNUSED_PAD src0_sel:DWORD src1_sel:WORD_1
	v_fmac_f16_e32 v17, 0xbb9c, v18
	ds_write2_b32 v184, v1, v0 offset0:30 offset1:45
	v_lshrrev_b32_e32 v0, 16, v83
	v_fmac_f16_e32 v65, 0x3b9c, v72
	v_mul_f16_sdwa v11, v9, v43 dst_sel:DWORD dst_unused:UNUSED_PAD src0_sel:DWORD src1_sel:WORD_1
	v_mul_f16_sdwa v16, v89, v43 dst_sel:DWORD dst_unused:UNUSED_PAD src0_sel:DWORD src1_sel:WORD_1
	v_fma_f16 v6, v87, v42, -v6
	v_mul_f16_sdwa v1, v0, v40 dst_sel:DWORD dst_unused:UNUSED_PAD src0_sel:DWORD src1_sel:WORD_1
	v_fmac_f16_e32 v2, v0, v40
	v_lshrrev_b32_e32 v0, 16, v85
	v_fma_f16 v11, v89, v43, -v11
	v_fmac_f16_e32 v17, 0xb8b4, v64
	v_fma_f16 v1, v83, v40, -v1
	v_fmac_f16_e32 v65, 0x38b4, v74
	v_mul_f16_sdwa v3, v0, v41 dst_sel:DWORD dst_unused:UNUSED_PAD src0_sel:DWORD src1_sel:WORD_1
	v_fmac_f16_e32 v4, v0, v41
	v_fmac_f16_e32 v7, v5, v42
	;; [unrolled: 1-line block ×4, first 2 shown]
	v_fma_f16 v3, v85, v41, -v3
	v_fmac_f16_e32 v65, 0x34f2, v10
	v_sub_f16_e32 v5, v11, v6
	v_sub_f16_e32 v8, v2, v4
	;; [unrolled: 1-line block ×4, first 2 shown]
	v_lshrrev_b32_e32 v10, 16, v81
	v_sub_f16_e32 v18, v2, v16
	v_sub_f16_e32 v72, v1, v11
	v_add_f16_e32 v8, v8, v9
	v_add_f16_e32 v0, v0, v5
	v_pack_b32_f16 v5, v17, v65
	v_add_f16_e32 v9, v81, v1
	v_add_f16_e32 v17, v10, v2
	;; [unrolled: 1-line block ×3, first 2 shown]
	v_sub_f16_e32 v64, v4, v7
	v_sub_f16_e32 v74, v3, v6
	v_add_f16_e32 v9, v9, v3
	v_add_f16_e32 v17, v17, v4
	v_fma_f16 v65, -0.5, v65, v10
	ds_write_b32 v184, v5 offset:240
	v_mad_u16 v5, 0x4b, v191, v193
	v_add_f16_e32 v9, v9, v6
	v_add_f16_e32 v17, v17, v7
	v_fmamk_f16 v73, v72, 0xbb9c, v65
	v_fmac_f16_e32 v65, 0x3b9c, v72
	v_sub_f16_e32 v4, v4, v2
	v_add_f16_e32 v9, v9, v11
	v_add_f16_e32 v17, v17, v16
	;; [unrolled: 1-line block ×3, first 2 shown]
	v_fmac_f16_e32 v65, 0x38b4, v74
	v_lshlrev_b32_sdwa v190, v97, v5 dst_sel:DWORD dst_unused:UNUSED_PAD src0_sel:DWORD src1_sel:WORD_0
	v_sub_f16_e32 v5, v6, v11
	v_pack_b32_f16 v9, v9, v17
	v_add_f16_e32 v17, v3, v6
	v_sub_f16_e32 v3, v3, v1
	v_add_f16_e32 v1, v1, v11
	v_sub_f16_e32 v6, v7, v16
	v_fmac_f16_e32 v10, -0.5, v2
	v_fma_f16 v17, -0.5, v17, v81
	v_fmac_f16_e32 v65, 0x34f2, v8
	v_fmac_f16_e32 v81, -0.5, v1
	v_add_f16_e32 v1, v3, v5
	v_add_f16_e32 v2, v4, v6
	v_fmamk_f16 v19, v18, 0x3b9c, v17
	v_fmac_f16_e32 v17, 0xbb9c, v18
	v_fmamk_f16 v3, v64, 0xbb9c, v81
	v_fmac_f16_e32 v81, 0x3b9c, v64
	;; [unrolled: 2-line block ×3, first 2 shown]
	v_fmac_f16_e32 v17, 0xb8b4, v64
	v_fmac_f16_e32 v10, 0xbb9c, v74
	;; [unrolled: 1-line block ×10, first 2 shown]
	v_pack_b32_f16 v0, v17, v65
	v_fmac_f16_e32 v10, 0x34f2, v2
	v_fmac_f16_e32 v4, 0x34f2, v2
	v_fmac_f16_e32 v73, 0xb8b4, v74
	ds_write_b32 v190, v0 offset:240
	v_mov_b32_e32 v0, 0xb4e9
	v_pack_b32_f16 v5, v81, v10
	v_pack_b32_f16 v1, v3, v4
	v_fmac_f16_e32 v73, 0x34f2, v8
	v_mul_u32_u24_sdwa v0, v77, v0 dst_sel:DWORD dst_unused:UNUSED_PAD src0_sel:WORD_0 src1_sel:DWORD
	ds_write2_b32 v190, v1, v5 offset0:30 offset1:45
	v_pack_b32_f16 v19, v19, v73
	v_lshrrev_b32_e32 v0, 16, v0
	ds_write2_b32 v190, v9, v19 offset1:15
	s_waitcnt lgkmcnt(0)
	v_sub_nc_u16 v1, v77, v0
	s_barrier
	buffer_gl0_inv
	v_lshrrev_b16 v1, 1, v1
	v_add_nc_u16 v2, v1, v0
	v_add_nc_u32_e32 v0, 0xffffffb5, v138
	v_lshrrev_b16 v123, 6, v2
	v_cndmask_b32_e32 v99, v0, v138, vcc_lo
	v_mul_lo_u16 v2, 0x4b, v123
	v_mul_i32_i24_e32 v0, 36, v99
	v_mul_hi_i32_i24_e32 v1, 36, v99
	v_sub_nc_u16 v79, v77, v2
	v_add_co_u32 v0, vcc_lo, s2, v0
	v_add_co_ci_u32_e32 v1, vcc_lo, s3, v1, vcc_lo
	v_mul_lo_u16 v2, v79, 36
	v_cmp_lt_u16_e32 vcc_lo, 0x4a, v126
	v_and_b32_e32 v2, 0xffff, v2
	v_add_co_u32 v4, s0, s2, v2
	v_add_co_ci_u32_e64 v5, null, s3, 0, s0
	ds_read2_b32 v[2:3], v167 offset0:86 offset1:211
	s_clause 0x2
	global_load_dword v151, v[4:5], off offset:320
	global_load_dwordx4 v[109:112], v[4:5], off offset:288
	global_load_dwordx4 v[113:116], v[4:5], off offset:304
	ds_read2_b32 v[64:65], v125 offset0:104 offset1:229
	ds_read2_b32 v[80:81], v137 offset0:122 offset1:247
	;; [unrolled: 1-line block ×6, first 2 shown]
	s_waitcnt lgkmcnt(6)
	v_lshrrev_b32_e32 v6, 16, v2
	s_waitcnt lgkmcnt(5)
	v_lshrrev_b32_e32 v5, 16, v64
	;; [unrolled: 2-line block ×3, first 2 shown]
	v_lshrrev_b32_e32 v92, 16, v81
	s_waitcnt lgkmcnt(1)
	v_lshrrev_b32_e32 v229, 16, v191
	s_waitcnt lgkmcnt(0)
	v_lshrrev_b32_e32 v75, 16, v194
	s_waitcnt vmcnt(2)
	v_mul_f16_sdwa v199, v194, v151 dst_sel:DWORD dst_unused:UNUSED_PAD src0_sel:DWORD src1_sel:WORD_1
	s_waitcnt vmcnt(1)
	v_mul_f16_sdwa v84, v2, v112 dst_sel:DWORD dst_unused:UNUSED_PAD src0_sel:DWORD src1_sel:WORD_1
	v_mul_f16_sdwa v4, v6, v112 dst_sel:DWORD dst_unused:UNUSED_PAD src0_sel:DWORD src1_sel:WORD_1
	;; [unrolled: 1-line block ×4, first 2 shown]
	s_waitcnt vmcnt(0)
	v_mul_f16_sdwa v181, v186, v113 dst_sel:DWORD dst_unused:UNUSED_PAD src0_sel:DWORD src1_sel:WORD_1
	v_fmac_f16_e32 v84, v6, v112
	ds_read2_b32 v[6:7], v135 offset0:68 offset1:193
	v_fma_f16 v87, v2, v112, -v4
	v_fmac_f16_e32 v85, v5, v110
	v_fma_f16 v66, v64, v110, -v72
	v_mul_f16_sdwa v174, v83, v109 dst_sel:DWORD dst_unused:UNUSED_PAD src0_sel:DWORD src1_sel:WORD_1
	v_mul_f16_sdwa v197, v192, v111 dst_sel:DWORD dst_unused:UNUSED_PAD src0_sel:DWORD src1_sel:WORD_1
	v_fmac_f16_e32 v199, v75, v151
	v_mul_f16_sdwa v75, v75, v151 dst_sel:DWORD dst_unused:UNUSED_PAD src0_sel:DWORD src1_sel:WORD_1
	v_add_f16_e32 v177, v80, v66
	v_fma_f16 v202, v194, v151, -v75
	s_waitcnt lgkmcnt(0)
	v_lshrrev_b32_e32 v4, 16, v6
	v_mul_f16_sdwa v25, v6, v114 dst_sel:DWORD dst_unused:UNUSED_PAD src0_sel:DWORD src1_sel:WORD_1
	v_mul_f16_sdwa v73, v4, v114 dst_sel:DWORD dst_unused:UNUSED_PAD src0_sel:DWORD src1_sel:WORD_1
	v_fmac_f16_e32 v25, v4, v114
	ds_read2_b32 v[4:5], v168 offset0:50 offset1:175
	v_fma_f16 v67, v6, v114, -v73
	v_sub_f16_e32 v207, v84, v25
	v_add_f16_e32 v72, v87, v67
	v_fma_f16 v100, -0.5, v72, v80
	s_waitcnt lgkmcnt(0)
	v_lshrrev_b32_e32 v74, 16, v4
	v_mul_f16_sdwa v86, v4, v116 dst_sel:DWORD dst_unused:UNUSED_PAD src0_sel:DWORD src1_sel:WORD_1
	v_fmac_f16_e32 v86, v74, v116
	v_mul_f16_sdwa v74, v74, v116 dst_sel:DWORD dst_unused:UNUSED_PAD src0_sel:DWORD src1_sel:WORD_1
	v_sub_f16_e32 v209, v85, v86
	v_fma_f16 v64, v4, v116, -v74
	v_lshrrev_b32_e32 v74, 16, v192
	v_add_f16_e32 v72, v66, v64
	v_sub_f16_e32 v73, v67, v64
	v_fmac_f16_e32 v197, v74, v111
	v_mul_f16_sdwa v74, v74, v111 dst_sel:DWORD dst_unused:UNUSED_PAD src0_sel:DWORD src1_sel:WORD_1
	v_fmac_f16_e32 v80, -0.5, v72
	v_sub_f16_e32 v72, v87, v66
	v_sub_f16_e32 v211, v197, v199
	v_fma_f16 v203, v192, v111, -v74
	v_lshrrev_b32_e32 v192, 16, v82
	v_fmamk_f16 v206, v207, 0xbb9c, v80
	v_add_f16_e32 v178, v72, v73
	v_lshrrev_b32_e32 v73, 16, v186
	v_lshrrev_b32_e32 v72, 16, v83
	v_sub_f16_e32 v212, v203, v202
	v_fmac_f16_e32 v80, 0x3b9c, v207
	v_fmac_f16_e32 v206, 0x38b4, v209
	;; [unrolled: 1-line block ×3, first 2 shown]
	v_mul_f16_sdwa v73, v73, v113 dst_sel:DWORD dst_unused:UNUSED_PAD src0_sel:DWORD src1_sel:WORD_1
	v_fmac_f16_e32 v174, v72, v109
	v_mul_f16_sdwa v72, v72, v109 dst_sel:DWORD dst_unused:UNUSED_PAD src0_sel:DWORD src1_sel:WORD_1
	v_fmac_f16_e32 v80, 0xb8b4, v209
	v_fmac_f16_e32 v206, 0x34f2, v178
	v_fma_f16 v200, v186, v113, -v73
	ds_read2_b32 v[186:187], v139 offset0:62 offset1:187
	v_fma_f16 v179, v83, v109, -v72
	v_add_f16_e32 v105, v174, v197
	v_fmac_f16_e32 v80, 0x34f2, v178
	v_add_nc_u32_e32 v178, 0x1000, v144
	v_add_f16_e32 v117, v179, v203
	s_waitcnt lgkmcnt(0)
	v_lshrrev_b32_e32 v73, 16, v187
	v_mul_f16_sdwa v198, v187, v115 dst_sel:DWORD dst_unused:UNUSED_PAD src0_sel:DWORD src1_sel:WORD_1
	v_lshrrev_b32_e32 v241, 16, v186
	v_fmac_f16_e32 v198, v73, v115
	v_mul_f16_sdwa v73, v73, v115 dst_sel:DWORD dst_unused:UNUSED_PAD src0_sel:DWORD src1_sel:WORD_1
	v_sub_f16_e32 v208, v181, v198
	v_fma_f16 v201, v187, v115, -v73
	v_add_f16_e32 v72, v200, v201
	v_sub_f16_e32 v73, v201, v202
	v_sub_f16_e32 v210, v200, v201
	v_fma_f16 v180, -0.5, v72, v179
	v_add_f16_e32 v72, v203, v202
	v_fmac_f16_e32 v179, -0.5, v72
	v_sub_f16_e32 v72, v200, v203
	v_fmamk_f16 v214, v208, 0xbb9c, v179
	v_add_f16_e32 v205, v72, v73
	v_add_f16_e32 v72, v181, v198
	v_sub_f16_e32 v73, v198, v199
	v_fmac_f16_e32 v179, 0x3b9c, v208
	v_fmac_f16_e32 v214, 0x38b4, v211
	v_fma_f16 v204, -0.5, v72, v174
	v_add_f16_e32 v72, v197, v199
	v_fmac_f16_e32 v179, 0xb8b4, v211
	v_fmac_f16_e32 v214, 0x34f2, v205
	v_fmac_f16_e32 v174, -0.5, v72
	v_sub_f16_e32 v72, v181, v197
	v_fmac_f16_e32 v179, 0x34f2, v205
	v_fmamk_f16 v215, v210, 0x3b9c, v174
	v_add_f16_e32 v213, v72, v73
	s_clause 0x1
	global_load_dwordx4 v[88:91], v[0:1], off offset:288
	global_load_dwordx4 v[72:75], v[0:1], off offset:304
	v_fmac_f16_e32 v174, 0xbb9c, v210
	v_mul_f16_e32 v83, 0xb4f2, v179
	global_load_dword v196, v[0:1], off offset:320
	v_mul_lo_u16 v0, 0xdb, v71
	v_fmac_f16_e32 v215, 0xb8b4, v212
	v_fmac_f16_e32 v174, 0x38b4, v212
	v_lshrrev_b16 v71, 14, v0
	v_fmac_f16_e32 v215, 0x34f2, v213
	v_fmac_f16_e32 v174, 0x34f2, v213
	v_add_nc_u32_e32 v213, 0x1800, v144
	v_mul_lo_u16 v0, 0x4b, v71
	v_fmac_f16_e32 v83, 0x3b9c, v174
	v_sub_nc_u16 v0, v118, v0
	v_add_f16_e32 v78, v80, v83
	v_sub_f16_e32 v107, v80, v83
	v_lshrrev_b32_e32 v80, 16, v65
	v_and_b32_e32 v221, 0xff, v0
	v_mad_u64_u32 v[0:1], null, v221, 36, s[2:3]
	s_waitcnt vmcnt(2)
	v_mul_f16_sdwa v93, v92, v88 dst_sel:DWORD dst_unused:UNUSED_PAD src0_sel:DWORD src1_sel:WORD_1
	v_mul_f16_sdwa v187, v81, v88 dst_sel:DWORD dst_unused:UNUSED_PAD src0_sel:DWORD src1_sel:WORD_1
	s_waitcnt vmcnt(1)
	v_mul_f16_sdwa v8, v7, v74 dst_sel:DWORD dst_unused:UNUSED_PAD src0_sel:DWORD src1_sel:WORD_1
	v_mul_f16_sdwa v9, v3, v72 dst_sel:DWORD dst_unused:UNUSED_PAD src0_sel:DWORD src1_sel:WORD_1
	v_fma_f16 v182, v81, v88, -v93
	v_mul_f16_sdwa v81, v80, v90 dst_sel:DWORD dst_unused:UNUSED_PAD src0_sel:DWORD src1_sel:WORD_1
	v_fmac_f16_e32 v187, v92, v88
	v_fma_f16 v194, v65, v90, -v81
	v_lshrrev_b32_e32 v81, 16, v3
	v_mul_f16_sdwa v65, v65, v90 dst_sel:DWORD dst_unused:UNUSED_PAD src0_sel:DWORD src1_sel:WORD_1
	v_mul_f16_sdwa v83, v81, v72 dst_sel:DWORD dst_unused:UNUSED_PAD src0_sel:DWORD src1_sel:WORD_1
	v_fmac_f16_e32 v65, v80, v90
	v_fmac_f16_e32 v9, v81, v72
	v_fma_f16 v195, v3, v72, -v83
	v_lshrrev_b32_e32 v83, 16, v7
	v_add_f16_e32 v158, v187, v65
	v_mul_f16_sdwa v93, v83, v74 dst_sel:DWORD dst_unused:UNUSED_PAD src0_sel:DWORD src1_sel:WORD_1
	v_fmac_f16_e32 v8, v83, v74
	v_lshrrev_b32_e32 v83, 16, v5
	v_add_f16_e32 v158, v158, v9
	v_fma_f16 v220, v7, v74, -v93
	global_load_dwordx4 v[92:95], v[0:1], off offset:288
	s_waitcnt vmcnt(1)
	v_mul_f16_sdwa v80, v83, v196 dst_sel:DWORD dst_unused:UNUSED_PAD src0_sel:DWORD src1_sel:WORD_1
	v_mul_f16_sdwa v7, v5, v196 dst_sel:DWORD dst_unused:UNUSED_PAD src0_sel:DWORD src1_sel:WORD_1
	v_sub_f16_e32 v19, v9, v8
	v_sub_f16_e32 v17, v195, v220
	v_add_f16_e32 v158, v158, v8
	v_fma_f16 v222, v5, v196, -v80
	v_fmac_f16_e32 v7, v83, v196
	v_sub_f16_e32 v156, v222, v220
	v_sub_f16_e32 v157, v7, v8
	;; [unrolled: 1-line block ×4, first 2 shown]
	v_add_f16_e32 v158, v158, v7
	s_waitcnt vmcnt(0)
	v_mul_f16_sdwa v80, v192, v92 dst_sel:DWORD dst_unused:UNUSED_PAD src0_sel:DWORD src1_sel:WORD_1
	v_mul_f16_sdwa v224, v82, v92 dst_sel:DWORD dst_unused:UNUSED_PAD src0_sel:DWORD src1_sel:WORD_1
	;; [unrolled: 1-line block ×3, first 2 shown]
	v_fma_f16 v223, v82, v92, -v80
	ds_read2_b32 v[80:81], v128 offset0:110 offset1:235
	v_fmac_f16_e32 v224, v192, v92
	v_lshrrev_b32_e32 v192, 16, v185
	v_fmac_f16_e32 v231, v229, v94
	v_add_f16_e32 v255, v224, v231
	s_waitcnt lgkmcnt(0)
	v_lshrrev_b32_e32 v82, 16, v80
	v_mul_f16_sdwa v225, v80, v89 dst_sel:DWORD dst_unused:UNUSED_PAD src0_sel:DWORD src1_sel:WORD_1
	v_mul_f16_sdwa v228, v81, v93 dst_sel:DWORD dst_unused:UNUSED_PAD src0_sel:DWORD src1_sel:WORD_1
	v_fmac_f16_e32 v225, v82, v89
	v_mul_f16_sdwa v82, v82, v89 dst_sel:DWORD dst_unused:UNUSED_PAD src0_sel:DWORD src1_sel:WORD_1
	v_fma_f16 v226, v80, v89, -v82
	v_lshrrev_b32_e32 v82, 16, v81
	v_mul_f16_sdwa v80, v82, v93 dst_sel:DWORD dst_unused:UNUSED_PAD src0_sel:DWORD src1_sel:WORD_1
	v_fmac_f16_e32 v228, v82, v93
	v_fma_f16 v227, v81, v93, -v80
	v_mul_f16_sdwa v80, v229, v94 dst_sel:DWORD dst_unused:UNUSED_PAD src0_sel:DWORD src1_sel:WORD_1
	v_fma_f16 v230, v191, v94, -v80
	ds_read2_b32 v[80:81], v70 offset0:92 offset1:217
	v_add_f16_e32 v252, v223, v230
	s_waitcnt lgkmcnt(0)
	v_lshrrev_b32_e32 v191, 16, v80
	v_mul_f16_sdwa v232, v80, v91 dst_sel:DWORD dst_unused:UNUSED_PAD src0_sel:DWORD src1_sel:WORD_1
	v_mul_f16_sdwa v235, v81, v95 dst_sel:DWORD dst_unused:UNUSED_PAD src0_sel:DWORD src1_sel:WORD_1
	v_fmac_f16_e32 v232, v191, v91
	v_mul_f16_sdwa v191, v191, v91 dst_sel:DWORD dst_unused:UNUSED_PAD src0_sel:DWORD src1_sel:WORD_1
	v_fma_f16 v233, v80, v91, -v191
	v_lshrrev_b32_e32 v80, 16, v81
	v_mul_f16_sdwa v191, v80, v95 dst_sel:DWORD dst_unused:UNUSED_PAD src0_sel:DWORD src1_sel:WORD_1
	v_fmac_f16_e32 v235, v80, v95
	v_fma_f16 v234, v81, v95, -v191
	s_clause 0x1
	global_load_dword v191, v[0:1], off offset:320
	global_load_dwordx4 v[80:83], v[0:1], off offset:304
	s_waitcnt vmcnt(1)
	v_mul_f16_sdwa v248, v193, v191 dst_sel:DWORD dst_unused:UNUSED_PAD src0_sel:DWORD src1_sel:WORD_1
	s_waitcnt vmcnt(0)
	v_mul_f16_sdwa v0, v192, v80 dst_sel:DWORD dst_unused:UNUSED_PAD src0_sel:DWORD src1_sel:WORD_1
	v_fma_f16 v229, v185, v80, -v0
	ds_read2_b32 v[0:1], v98 offset0:74 offset1:199
	v_mul_f16_sdwa v185, v185, v80 dst_sel:DWORD dst_unused:UNUSED_PAD src0_sel:DWORD src1_sel:WORD_1
	v_fmac_f16_e32 v185, v192, v80
	s_waitcnt lgkmcnt(0)
	v_lshrrev_b32_e32 v236, 16, v0
	v_mul_f16_sdwa v237, v0, v73 dst_sel:DWORD dst_unused:UNUSED_PAD src0_sel:DWORD src1_sel:WORD_1
	v_lshrrev_b32_e32 v238, 16, v1
	v_mul_f16_sdwa v240, v1, v81 dst_sel:DWORD dst_unused:UNUSED_PAD src0_sel:DWORD src1_sel:WORD_1
	v_fmac_f16_e32 v237, v236, v73
	v_mul_f16_sdwa v236, v236, v73 dst_sel:DWORD dst_unused:UNUSED_PAD src0_sel:DWORD src1_sel:WORD_1
	v_fmac_f16_e32 v240, v238, v81
	v_add_f16_e32 v163, v232, v237
	v_fma_f16 v236, v0, v73, -v236
	v_mul_f16_sdwa v0, v238, v81 dst_sel:DWORD dst_unused:UNUSED_PAD src0_sel:DWORD src1_sel:WORD_1
	v_sub_f16_e32 v96, v235, v240
	v_sub_f16_e32 v11, v232, v237
	;; [unrolled: 1-line block ×3, first 2 shown]
	v_fma_f16 v239, v1, v81, -v0
	v_mul_f16_sdwa v0, v241, v82 dst_sel:DWORD dst_unused:UNUSED_PAD src0_sel:DWORD src1_sel:WORD_1
	v_add_f16_e32 v192, v234, v239
	v_fma_f16 v242, v186, v82, -v0
	ds_read2_b32 v[0:1], v120 offset0:56 offset1:181
	v_mul_f16_sdwa v186, v186, v82 dst_sel:DWORD dst_unused:UNUSED_PAD src0_sel:DWORD src1_sel:WORD_1
	v_sub_f16_e32 v24, v229, v242
	v_fmac_f16_e32 v186, v241, v82
	v_sub_f16_e32 v108, v185, v186
	s_waitcnt lgkmcnt(0)
	v_lshrrev_b32_e32 v243, 16, v0
	v_mul_f16_sdwa v244, v0, v75 dst_sel:DWORD dst_unused:UNUSED_PAD src0_sel:DWORD src1_sel:WORD_1
	v_mul_f16_sdwa v246, v1, v83 dst_sel:DWORD dst_unused:UNUSED_PAD src0_sel:DWORD src1_sel:WORD_1
	v_fmac_f16_e32 v244, v243, v75
	v_mul_f16_sdwa v243, v243, v75 dst_sel:DWORD dst_unused:UNUSED_PAD src0_sel:DWORD src1_sel:WORD_1
	v_sub_f16_e32 v155, v244, v237
	v_fma_f16 v243, v0, v75, -v243
	v_lshrrev_b32_e32 v0, 16, v1
	v_sub_f16_e32 v154, v243, v236
	v_mul_f16_sdwa v245, v0, v83 dst_sel:DWORD dst_unused:UNUSED_PAD src0_sel:DWORD src1_sel:WORD_1
	v_fmac_f16_e32 v246, v0, v83
	v_add_f16_e32 v106, v226, v243
	v_sub_f16_e32 v10, v226, v243
	v_fma_f16 v245, v1, v83, -v245
	v_lshrrev_b32_e32 v1, 16, v193
	v_sub_f16_e32 v22, v228, v246
	v_mul_f16_sdwa v247, v1, v191 dst_sel:DWORD dst_unused:UNUSED_PAD src0_sel:DWORD src1_sel:WORD_1
	v_fmac_f16_e32 v248, v1, v191
	ds_read2_b32 v[0:1], v144 offset1:125
	s_waitcnt lgkmcnt(0)
	s_barrier
	v_fma_f16 v247, v193, v191, -v247
	v_sub_f16_e32 v193, v239, v245
	v_sub_f16_e32 v23, v231, v248
	buffer_gl0_inv
	v_sub_f16_e32 v98, v230, v247
	v_fma_f16 v238, -0.5, v192, v1
	v_add_f16_e32 v192, v227, v245
	v_lshrrev_b32_e32 v241, 16, v1
	v_add_f16_e32 v249, v1, v227
	v_fma_f16 v106, -0.5, v106, v0
	v_lshrrev_b32_e32 v2, 16, v0
	v_fmac_f16_e32 v1, -0.5, v192
	v_sub_f16_e32 v192, v234, v227
	v_add_f16_e32 v13, v0, v226
	v_fma_f16 v163, -0.5, v163, v2
	v_fmamk_f16 v147, v96, 0xbb9c, v1
	v_add_f16_e32 v250, v192, v193
	v_add_f16_e32 v192, v229, v242
	v_sub_f16_e32 v193, v242, v247
	v_fmac_f16_e32 v1, 0x3b9c, v96
	v_fmamk_f16 v26, v10, 0xbb9c, v163
	v_fmac_f16_e32 v163, 0x3b9c, v10
	v_fma_f16 v251, -0.5, v192, v223
	v_add_f16_e32 v192, v230, v247
	v_fmac_f16_e32 v1, 0xb8b4, v22
	v_fmac_f16_e32 v26, 0xb8b4, v27
	;; [unrolled: 1-line block ×4, first 2 shown]
	v_fmac_f16_e32 v223, -0.5, v192
	v_sub_f16_e32 v192, v229, v230
	v_fmac_f16_e32 v1, 0x34f2, v250
	v_fmac_f16_e32 v147, 0x34f2, v250
	v_fmamk_f16 v14, v108, 0xbb9c, v223
	v_add_f16_e32 v253, v192, v193
	v_add_f16_e32 v192, v185, v186
	v_fmac_f16_e32 v223, 0x3b9c, v108
	v_sub_f16_e32 v193, v186, v248
	v_fmac_f16_e32 v14, 0x38b4, v23
	v_fma_f16 v254, -0.5, v192, v224
	v_add_f16_e32 v192, v231, v248
	v_fmac_f16_e32 v223, 0xb8b4, v23
	v_fmac_f16_e32 v14, 0x34f2, v253
	v_fmac_f16_e32 v224, -0.5, v192
	v_sub_f16_e32 v192, v185, v231
	v_fmac_f16_e32 v223, 0x34f2, v253
	v_fmamk_f16 v12, v24, 0x3b9c, v224
	v_fmac_f16_e32 v224, 0xbb9c, v24
	v_add_f16_e32 v193, v192, v193
	v_add_f16_e32 v192, v233, v236
	v_fmac_f16_e32 v12, 0xb8b4, v98
	v_fmac_f16_e32 v224, 0x38b4, v98
	v_fma_f16 v4, -0.5, v192, v0
	v_mul_f16_e32 v192, 0xb4f2, v223
	v_fmac_f16_e32 v12, 0x34f2, v193
	v_fmac_f16_e32 v224, 0x34f2, v193
	;; [unrolled: 1-line block ×3, first 2 shown]
	v_add_f16_e32 v68, v1, v192
	v_sub_f16_e32 v69, v1, v192
	v_sub_f16_e32 v192, v226, v233
	v_add_f16_e32 v154, v192, v154
	v_sub_f16_e32 v192, v225, v232
	v_add_f16_e32 v155, v192, v155
	v_sub_f16_e32 v192, v194, v195
	v_fmac_f16_e32 v26, 0x34f2, v155
	v_add_f16_e32 v156, v192, v156
	v_sub_f16_e32 v192, v65, v9
	v_fmac_f16_e32 v163, 0x34f2, v155
	v_add_f16_e32 v157, v192, v157
	v_add_f16_e32 v192, v195, v220
	v_fma_f16 v1, -0.5, v192, v182
	v_add_f16_e32 v192, v9, v8
	v_fmamk_f16 v18, v15, 0x3b9c, v1
	v_fma_f16 v192, -0.5, v192, v187
	v_fmac_f16_e32 v1, 0xbb9c, v15
	v_fmac_f16_e32 v18, 0x38b4, v19
	v_fmamk_f16 v0, v16, 0xbb9c, v192
	v_fmac_f16_e32 v192, 0x3b9c, v16
	v_fmac_f16_e32 v1, 0xb8b4, v19
	;; [unrolled: 1-line block ×8, first 2 shown]
	v_mul_f16_e32 v6, 0x38b4, v0
	v_fmac_f16_e32 v6, 0x3a79, v18
	v_mul_f16_e32 v18, 0xb8b4, v18
	v_fmac_f16_e32 v18, 0x3a79, v0
	v_cndmask_b32_e64 v0, 0, 0x2ee, vcc_lo
	v_add_f16_e32 v165, v26, v18
	v_add_lshl_u32 v126, v99, v0, 2
	v_add_f16_e32 v0, v13, v233
	v_add_f16_e32 v13, v2, v225
	;; [unrolled: 1-line block ×13, first 2 shown]
	v_pack_b32_f16 v3, v0, v21
	v_sub_f16_e32 v21, v225, v244
	v_fmamk_f16 v0, v21, 0x3b9c, v4
	v_fmac_f16_e32 v4, 0xbb9c, v21
	v_fmac_f16_e32 v0, 0x38b4, v11
	;; [unrolled: 1-line block ×5, first 2 shown]
	v_mov_b32_e32 v154, v70
	v_add_f16_e32 v5, v0, v6
	v_sub_f16_e32 v0, v0, v6
	v_pack_b32_f16 v5, v5, v165
	v_add_f16_e32 v165, v225, v244
	ds_write2_b32 v126, v3, v5 offset1:75
	v_sub_f16_e32 v3, v233, v226
	v_sub_f16_e32 v5, v236, v243
	v_fmamk_f16 v226, v11, 0xbb9c, v106
	v_fmac_f16_e32 v106, 0x3b9c, v11
	v_fmac_f16_e32 v2, -0.5, v165
	v_add_f16_e32 v165, v194, v222
	v_add_f16_e32 v3, v3, v5
	v_sub_f16_e32 v5, v232, v225
	v_sub_f16_e32 v225, v237, v244
	v_fmac_f16_e32 v226, 0x38b4, v21
	v_fmac_f16_e32 v106, 0xb8b4, v21
	v_fmac_f16_e32 v182, -0.5, v165
	v_sub_f16_e32 v11, v13, v158
	v_fmac_f16_e32 v226, 0x34f2, v3
	v_fmac_f16_e32 v106, 0x34f2, v3
	v_add_f16_e32 v3, v5, v225
	v_sub_f16_e32 v5, v195, v194
	v_fmamk_f16 v195, v27, 0x3b9c, v2
	v_fmac_f16_e32 v2, 0xbb9c, v27
	v_sub_f16_e32 v194, v220, v222
	v_add_nc_u32_e32 v220, 0x400, v126
	v_fmac_f16_e32 v195, 0xb8b4, v10
	v_fmac_f16_e32 v2, 0x38b4, v10
	v_mul_f16_e32 v10, 0xba79, v192
	v_fmac_f16_e32 v195, 0x34f2, v3
	v_fmac_f16_e32 v2, 0x34f2, v3
	v_add_f16_e32 v3, v5, v194
	v_add_f16_e32 v5, v65, v7
	v_sub_f16_e32 v7, v8, v7
	v_fmamk_f16 v8, v19, 0xbb9c, v182
	v_fmac_f16_e32 v182, 0x3b9c, v19
	v_fmac_f16_e32 v10, 0xb8b4, v1
	v_fmac_f16_e32 v187, -0.5, v5
	v_sub_f16_e32 v5, v9, v65
	v_fmac_f16_e32 v8, 0x38b4, v15
	v_fmac_f16_e32 v182, 0xb8b4, v15
	v_add_f16_e32 v15, v163, v10
	v_add_nc_u32_e32 v194, 0x600, v126
	v_fmac_f16_e32 v8, 0x34f2, v3
	v_fmac_f16_e32 v182, 0x34f2, v3
	v_add_f16_e32 v3, v5, v7
	v_fmamk_f16 v5, v17, 0x3b9c, v187
	v_fmac_f16_e32 v187, 0xbb9c, v17
	v_mul_f16_e32 v7, 0xbb9c, v8
	v_fmac_f16_e32 v5, 0xb8b4, v16
	v_fmac_f16_e32 v187, 0x38b4, v16
	v_fmamk_f16 v16, v22, 0x3b9c, v238
	v_fmac_f16_e32 v238, 0xbb9c, v22
	v_fmac_f16_e32 v5, 0x34f2, v3
	;; [unrolled: 1-line block ×5, first 2 shown]
	v_mul_f16_e32 v3, 0x3b9c, v5
	v_fmac_f16_e32 v7, 0x34f2, v5
	v_mul_f16_e32 v5, 0xb4f2, v182
	v_fmac_f16_e32 v3, 0x34f2, v8
	;; [unrolled: 2-line block ×3, first 2 shown]
	v_add_f16_e32 v65, v195, v7
	v_sub_f16_e32 v6, v195, v7
	v_add_f16_e32 v9, v226, v3
	v_fmac_f16_e32 v8, 0xbb9c, v182
	v_add_nc_u32_e32 v195, 0x800, v126
	v_sub_f16_e32 v7, v247, v242
	v_pack_b32_f16 v9, v9, v65
	v_add_f16_e32 v65, v106, v5
	v_add_f16_e32 v165, v2, v8
	v_sub_f16_e32 v2, v2, v8
	v_sub_f16_e32 v8, v231, v185
	v_pack_b32_f16 v65, v65, v165
	ds_write2_b32 v126, v9, v65 offset0:150 offset1:225
	v_mul_f16_e32 v9, 0xba79, v1
	v_sub_f16_e32 v1, v20, v99
	v_fmac_f16_e32 v9, 0x38b4, v192
	v_pack_b32_f16 v1, v1, v11
	v_fmamk_f16 v11, v23, 0x3b9c, v251
	v_fmac_f16_e32 v251, 0xbb9c, v23
	v_add_f16_e32 v13, v4, v9
	v_fmac_f16_e32 v11, 0x38b4, v108
	v_fmac_f16_e32 v251, 0xb8b4, v108
	v_pack_b32_f16 v13, v13, v15
	ds_write2_b32 v220, v13, v1 offset0:44 offset1:119
	v_sub_f16_e32 v1, v226, v3
	v_sub_f16_e32 v3, v26, v18
	v_pack_b32_f16 v1, v1, v6
	v_pack_b32_f16 v0, v0, v3
	v_sub_f16_e32 v3, v163, v10
	v_fmamk_f16 v10, v98, 0xbb9c, v254
	v_sub_f16_e32 v6, v230, v229
	v_fmac_f16_e32 v254, 0x3b9c, v98
	ds_write2_b32 v194, v0, v1 offset0:66 offset1:141
	v_sub_f16_e32 v1, v4, v9
	v_sub_f16_e32 v9, v248, v186
	v_sub_f16_e32 v0, v106, v5
	v_sub_f16_e32 v4, v228, v235
	v_sub_f16_e32 v5, v246, v240
	v_pack_b32_f16 v1, v1, v3
	v_add_f16_e32 v8, v8, v9
	v_mov_b32_e32 v9, 0x2ee
	v_pack_b32_f16 v0, v0, v2
	v_fmac_f16_e32 v10, 0xb8b4, v24
	v_add_f16_e32 v4, v4, v5
	v_add_f16_e32 v5, v252, v229
	v_mul_u32_u24_sdwa v9, v71, v9 dst_sel:DWORD dst_unused:UNUSED_PAD src0_sel:WORD_0 src1_sel:DWORD
	ds_write2_b32 v195, v0, v1 offset0:88 offset1:163
	v_sub_f16_e32 v0, v227, v234
	v_sub_f16_e32 v1, v245, v239
	v_add_f16_e32 v6, v6, v7
	v_add_lshl_u32 v182, v9, v221, 2
	v_add_f16_e32 v9, v241, v228
	v_add_f16_e32 v7, v255, v185
	;; [unrolled: 1-line block ×4, first 2 shown]
	v_fmac_f16_e32 v10, 0x34f2, v8
	v_add_f16_e32 v9, v9, v235
	v_add_f16_e32 v5, v5, v242
	;; [unrolled: 1-line block ×4, first 2 shown]
	v_fmac_f16_e32 v11, 0x34f2, v6
	v_mul_f16_e32 v13, 0x38b4, v10
	v_add_f16_e32 v9, v9, v240
	v_add_f16_e32 v5, v5, v247
	;; [unrolled: 1-line block ×4, first 2 shown]
	v_fmac_f16_e32 v13, 0x3a79, v11
	v_mul_f16_e32 v11, 0xb8b4, v11
	v_add_f16_e32 v9, v9, v246
	v_sub_f16_e32 v2, v227, v245
	v_sub_f16_e32 v3, v234, v239
	v_fmac_f16_e32 v16, 0x34f2, v0
	v_fmac_f16_e32 v11, 0x3a79, v10
	v_add_f16_e32 v10, v1, v5
	v_add_f16_e32 v15, v9, v7
	v_fmac_f16_e32 v254, 0x38b4, v24
	v_add_f16_e32 v18, v16, v13
	v_fmac_f16_e32 v251, 0x34f2, v6
	v_fmac_f16_e32 v238, 0x34f2, v0
	v_pack_b32_f16 v10, v10, v15
	v_add_f16_e32 v15, v235, v240
	v_fmac_f16_e32 v254, 0x34f2, v8
	v_mul_f16_e32 v0, 0xba79, v251
	v_sub_f16_e32 v1, v1, v5
	v_add_nc_u32_e32 v185, 0x400, v182
	v_fma_f16 v15, -0.5, v15, v241
	v_add_nc_u32_e32 v186, 0x600, v182
	v_fmac_f16_e32 v0, 0x38b4, v254
	v_add_nc_u32_e32 v187, 0x800, v182
	v_sub_f16_e32 v8, v197, v181
	v_fmamk_f16 v17, v2, 0xbb9c, v15
	v_fmac_f16_e32 v15, 0x3b9c, v2
	v_sub_f16_e32 v6, v203, v200
	v_fmac_f16_e32 v17, 0xb8b4, v3
	v_fmac_f16_e32 v15, 0x38b4, v3
	;; [unrolled: 1-line block ×4, first 2 shown]
	v_add_f16_e32 v4, v238, v0
	v_sub_f16_e32 v0, v238, v0
	v_add_f16_e32 v19, v17, v11
	v_pack_b32_f16 v18, v18, v19
	ds_write2_b32 v182, v10, v18 offset1:75
	v_add_f16_e32 v10, v228, v246
	v_sub_f16_e32 v18, v240, v246
	v_fmac_f16_e32 v241, -0.5, v10
	v_sub_f16_e32 v10, v235, v228
	v_add_f16_e32 v10, v10, v18
	v_fmamk_f16 v18, v3, 0x3b9c, v241
	v_fmac_f16_e32 v241, 0xbb9c, v3
	v_sub_f16_e32 v3, v9, v7
	v_sub_f16_e32 v9, v199, v198
	;; [unrolled: 1-line block ×3, first 2 shown]
	v_fmac_f16_e32 v18, 0xb8b4, v2
	v_fmac_f16_e32 v241, 0x38b4, v2
	v_mul_f16_e32 v2, 0xba79, v254
	v_pack_b32_f16 v1, v1, v3
	v_add_f16_e32 v8, v8, v9
	v_fmac_f16_e32 v18, 0x34f2, v10
	v_fmac_f16_e32 v241, 0x34f2, v10
	v_mul_f16_e32 v10, 0x3b9c, v12
	v_fmac_f16_e32 v2, 0xb8b4, v251
	v_mad_u16 v9, 0x2ee, v123, v79
	v_add_f16_e32 v6, v6, v7
	v_add_f16_e32 v7, v105, v181
	v_fmac_f16_e32 v10, 0x34f2, v14
	v_mul_f16_e32 v14, 0xbb9c, v14
	v_add_f16_e32 v5, v15, v2
	v_sub_f16_e32 v2, v15, v2
	v_add_f16_e32 v7, v7, v198
	v_sub_f16_e32 v3, v147, v10
	v_fmac_f16_e32 v14, 0x34f2, v12
	v_pack_b32_f16 v4, v4, v5
	v_mul_f16_e32 v12, 0xb4f2, v224
	v_pack_b32_f16 v0, v0, v2
	v_add_f16_e32 v19, v147, v10
	v_sub_f16_e32 v5, v18, v14
	ds_write2_b32 v185, v4, v1 offset0:44 offset1:119
	v_sub_f16_e32 v1, v16, v13
	v_sub_f16_e32 v4, v17, v11
	v_fmac_f16_e32 v12, 0xbb9c, v223
	v_pack_b32_f16 v3, v3, v5
	v_fmamk_f16 v10, v212, 0xbb9c, v204
	v_sub_f16_e32 v5, v86, v25
	v_pack_b32_f16 v1, v1, v4
	v_sub_f16_e32 v4, v85, v84
	v_fmamk_f16 v11, v211, 0x3b9c, v180
	v_fmac_f16_e32 v10, 0xb8b4, v210
	v_add_f16_e32 v20, v18, v14
	ds_write2_b32 v186, v1, v3 offset0:66 offset1:141
	v_sub_f16_e32 v1, v241, v12
	v_add_f16_e32 v4, v4, v5
	v_add_f16_e32 v5, v117, v200
	v_fmac_f16_e32 v11, 0x38b4, v208
	v_fmac_f16_e32 v10, 0x34f2, v8
	v_pack_b32_f16 v1, v69, v1
	v_pack_b32_f16 v19, v19, v20
	v_add_f16_e32 v20, v241, v12
	v_add_f16_e32 v5, v5, v201
	v_fmac_f16_e32 v11, 0x34f2, v6
	ds_write2_b32 v187, v1, v0 offset0:88 offset1:163
	v_sub_f16_e32 v0, v66, v87
	v_sub_f16_e32 v1, v64, v67
	v_mul_f16_e32 v12, 0x38b4, v10
	v_add_f16_e32 v5, v5, v202
	v_add_f16_e32 v7, v7, v199
	v_sub_f16_e32 v2, v66, v64
	v_add_f16_e32 v0, v0, v1
	v_add_f16_e32 v1, v177, v87
	v_lshlrev_b32_sdwa v177, v97, v9 dst_sel:DWORD dst_unused:UNUSED_PAD src0_sel:DWORD src1_sel:WORD_0
	v_add_f16_e32 v9, v173, v85
	v_fmac_f16_e32 v12, 0x3a79, v11
	v_mul_f16_e32 v11, 0xb8b4, v11
	v_add_f16_e32 v1, v1, v67
	v_sub_f16_e32 v3, v87, v67
	v_add_f16_e32 v9, v9, v84
	v_fmamk_f16 v14, v209, 0x3b9c, v100
	v_fmac_f16_e32 v11, 0x3a79, v10
	v_add_f16_e32 v1, v1, v64
	v_pack_b32_f16 v20, v68, v20
	v_add_f16_e32 v9, v9, v25
	v_fmac_f16_e32 v14, 0x38b4, v207
	v_fmac_f16_e32 v180, 0xbb9c, v211
	v_add_f16_e32 v10, v1, v5
	ds_write2_b32 v182, v19, v20 offset0:150 offset1:225
	v_add_f16_e32 v9, v9, v86
	v_fmac_f16_e32 v14, 0x34f2, v0
	v_fmac_f16_e32 v204, 0x3b9c, v212
	;; [unrolled: 1-line block ×4, first 2 shown]
	v_add_f16_e32 v13, v9, v7
	v_add_f16_e32 v16, v14, v12
	v_fmac_f16_e32 v204, 0x38b4, v210
	v_fmac_f16_e32 v100, 0xb8b4, v207
	v_fmac_f16_e32 v180, 0x34f2, v6
	v_pack_b32_f16 v10, v10, v13
	v_add_f16_e32 v13, v84, v25
	v_fmac_f16_e32 v204, 0x34f2, v8
	v_fmac_f16_e32 v100, 0x34f2, v0
	v_mul_f16_e32 v0, 0xba79, v180
	v_mul_f16_e32 v18, 0xb4f2, v174
	v_fma_f16 v13, -0.5, v13, v173
	v_sub_f16_e32 v1, v1, v5
	v_add_nc_u32_e32 v181, 0x800, v177
	v_fmac_f16_e32 v0, 0x38b4, v204
	v_fmac_f16_e32 v18, 0xbb9c, v179
	v_fmamk_f16 v15, v2, 0xbb9c, v13
	v_fmac_f16_e32 v13, 0x3b9c, v2
	v_add_nc_u32_e32 v179, 0x400, v177
	v_mov_b32_e32 v147, v76
	v_add_nc_u32_e32 v174, 0xc00, v144
	v_fmac_f16_e32 v15, 0xb8b4, v3
	v_fmac_f16_e32 v13, 0x38b4, v3
	v_mov_b32_e32 v123, v168
	v_fmac_f16_e32 v15, 0x34f2, v4
	v_fmac_f16_e32 v13, 0x34f2, v4
	v_add_f16_e32 v4, v100, v0
	v_sub_f16_e32 v0, v100, v0
	v_mov_b32_e32 v193, v123
	v_add_f16_e32 v17, v15, v11
	v_pack_b32_f16 v16, v16, v17
	v_mul_f16_e32 v17, 0xbb9c, v214
	ds_write2_b32 v177, v10, v16 offset1:75
	v_add_f16_e32 v10, v85, v86
	v_sub_f16_e32 v16, v25, v86
	v_fmac_f16_e32 v17, 0x34f2, v215
	v_fmac_f16_e32 v173, -0.5, v10
	v_sub_f16_e32 v10, v84, v85
	v_add_f16_e32 v10, v10, v16
	v_fmamk_f16 v16, v3, 0x3b9c, v173
	v_fmac_f16_e32 v173, 0xbb9c, v3
	v_sub_f16_e32 v3, v9, v7
	v_fmac_f16_e32 v16, 0xb8b4, v2
	v_fmac_f16_e32 v173, 0x38b4, v2
	v_mul_f16_e32 v2, 0xba79, v204
	v_pack_b32_f16 v1, v1, v3
	v_fmac_f16_e32 v16, 0x34f2, v10
	v_fmac_f16_e32 v173, 0x34f2, v10
	;; [unrolled: 1-line block ×3, first 2 shown]
	v_mul_f16_e32 v10, 0x3b9c, v215
	v_add_nc_u32_e32 v180, 0x600, v177
	v_add_f16_e32 v20, v16, v17
	v_add_f16_e32 v5, v13, v2
	v_fmac_f16_e32 v10, 0x34f2, v214
	v_sub_f16_e32 v2, v13, v2
	v_add_nc_u32_e32 v214, 0x3000, v144
	v_pack_b32_f16 v4, v4, v5
	v_sub_f16_e32 v3, v206, v10
	v_sub_f16_e32 v5, v16, v17
	v_pack_b32_f16 v0, v0, v2
	v_lshlrev_b32_e32 v2, 4, v118
	ds_write2_b32 v179, v4, v1 offset0:44 offset1:119
	v_sub_f16_e32 v1, v14, v12
	v_sub_f16_e32 v4, v15, v11
	v_pack_b32_f16 v3, v3, v5
	v_add_f16_e32 v19, v206, v10
	v_pack_b32_f16 v1, v1, v4
	v_pack_b32_f16 v19, v19, v20
	v_add_f16_e32 v20, v173, v18
	ds_write2_b32 v180, v1, v3 offset0:66 offset1:141
	v_sub_f16_e32 v1, v173, v18
	v_add_nc_u32_e32 v173, 0x2400, v144
	v_pack_b32_f16 v20, v78, v20
	v_pack_b32_f16 v1, v107, v1
	ds_write2_b32 v177, v19, v20 offset0:150 offset1:225
	ds_write2_b32 v181, v1, v0 offset0:88 offset1:163
	v_lshlrev_b32_e32 v0, 4, v138
	s_waitcnt lgkmcnt(0)
	s_barrier
	buffer_gl0_inv
	ds_read2_b32 v[64:65], v128 offset0:110 offset1:235
	v_add_co_u32 v0, s0, s2, v0
	v_add_co_ci_u32_e64 v1, null, s3, 0, s0
	v_add_co_u32 v2, s0, s2, v2
	v_add_co_u32 v0, vcc_lo, 0x800, v0
	v_add_co_ci_u32_e64 v3, null, s3, 0, s0
	v_add_co_ci_u32_e32 v1, vcc_lo, 0, v1, vcc_lo
	v_add_co_u32 v2, vcc_lo, 0x800, v2
	v_add_co_ci_u32_e32 v3, vcc_lo, 0, v3, vcc_lo
	s_clause 0x1
	global_load_dwordx4 v[4:7], v[0:1], off offset:940
	global_load_dwordx4 v[0:3], v[2:3], off offset:940
	s_waitcnt lgkmcnt(0)
	v_lshrrev_b32_e32 v8, 16, v64
	v_lshrrev_b32_e32 v10, 16, v65
	s_waitcnt vmcnt(1)
	v_mul_f16_sdwa v9, v64, v4 dst_sel:DWORD dst_unused:UNUSED_PAD src0_sel:DWORD src1_sel:WORD_1
	s_waitcnt vmcnt(0)
	v_mul_f16_sdwa v11, v10, v0 dst_sel:DWORD dst_unused:UNUSED_PAD src0_sel:DWORD src1_sel:WORD_1
	v_mul_f16_sdwa v66, v65, v0 dst_sel:DWORD dst_unused:UNUSED_PAD src0_sel:DWORD src1_sel:WORD_1
	v_fmac_f16_e32 v9, v8, v4
	v_mul_f16_sdwa v8, v8, v4 dst_sel:DWORD dst_unused:UNUSED_PAD src0_sel:DWORD src1_sel:WORD_1
	v_fma_f16 v69, v65, v0, -v11
	v_fmac_f16_e32 v66, v10, v0
	v_fma_f16 v8, v64, v4, -v8
	ds_read2_b32 v[64:65], v70 offset0:92 offset1:217
	s_waitcnt lgkmcnt(0)
	v_lshrrev_b32_e32 v11, 16, v64
	v_lshrrev_b32_e32 v13, 16, v65
	v_mul_f16_sdwa v71, v65, v1 dst_sel:DWORD dst_unused:UNUSED_PAD src0_sel:DWORD src1_sel:WORD_1
	v_mul_f16_sdwa v12, v11, v5 dst_sel:DWORD dst_unused:UNUSED_PAD src0_sel:DWORD src1_sel:WORD_1
	;; [unrolled: 1-line block ×3, first 2 shown]
	v_fmac_f16_e32 v71, v13, v1
	v_fma_f16 v12, v64, v5, -v12
	v_fma_f16 v70, v65, v1, -v14
	v_mul_f16_sdwa v14, v64, v5 dst_sel:DWORD dst_unused:UNUSED_PAD src0_sel:DWORD src1_sel:WORD_1
	ds_read2_b32 v[64:65], v76 offset0:74 offset1:199
	v_fmac_f16_e32 v14, v11, v5
	s_waitcnt lgkmcnt(0)
	v_lshrrev_b32_e32 v15, 16, v64
	v_lshrrev_b32_e32 v17, 16, v65
	v_mul_f16_sdwa v79, v65, v2 dst_sel:DWORD dst_unused:UNUSED_PAD src0_sel:DWORD src1_sel:WORD_1
	v_mul_f16_sdwa v16, v15, v6 dst_sel:DWORD dst_unused:UNUSED_PAD src0_sel:DWORD src1_sel:WORD_1
	;; [unrolled: 1-line block ×3, first 2 shown]
	v_fmac_f16_e32 v79, v17, v2
	v_fma_f16 v16, v64, v6, -v16
	v_fma_f16 v78, v65, v2, -v18
	v_mul_f16_sdwa v18, v64, v6 dst_sel:DWORD dst_unused:UNUSED_PAD src0_sel:DWORD src1_sel:WORD_1
	ds_read2_b32 v[64:65], v120 offset0:56 offset1:181
	v_fmac_f16_e32 v18, v15, v6
	v_sub_f16_e32 v22, v14, v18
	s_waitcnt lgkmcnt(0)
	v_lshrrev_b32_e32 v10, 16, v64
	v_mul_f16_sdwa v11, v64, v7 dst_sel:DWORD dst_unused:UNUSED_PAD src0_sel:DWORD src1_sel:WORD_1
	v_lshrrev_b32_e32 v13, 16, v65
	v_mul_f16_sdwa v84, v65, v3 dst_sel:DWORD dst_unused:UNUSED_PAD src0_sel:DWORD src1_sel:WORD_1
	v_fmac_f16_e32 v11, v10, v7
	v_mul_f16_sdwa v10, v10, v7 dst_sel:DWORD dst_unused:UNUSED_PAD src0_sel:DWORD src1_sel:WORD_1
	v_mul_f16_sdwa v15, v13, v3 dst_sel:DWORD dst_unused:UNUSED_PAD src0_sel:DWORD src1_sel:WORD_1
	v_fmac_f16_e32 v84, v13, v3
	v_sub_f16_e32 v19, v9, v11
	v_fma_f16 v10, v64, v7, -v10
	v_fma_f16 v85, v65, v3, -v15
	ds_read2_b32 v[64:65], v144 offset1:125
	v_sub_f16_e32 v15, v8, v12
	v_sub_f16_e32 v17, v10, v16
	v_add_f16_e32 v21, v8, v10
	v_sub_f16_e32 v24, v16, v10
	v_add_f16_e32 v15, v15, v17
	v_add_f16_e32 v17, v12, v16
	s_waitcnt lgkmcnt(0)
	v_fma_f16 v17, -0.5, v17, v64
	v_add_f16_e32 v13, v64, v8
	v_fma_f16 v21, -0.5, v21, v64
	v_fmamk_f16 v20, v19, 0x3b9c, v17
	v_fmac_f16_e32 v17, 0xbb9c, v19
	v_add_f16_e32 v13, v13, v12
	v_fmamk_f16 v23, v22, 0xbb9c, v21
	v_fmac_f16_e32 v21, 0x3b9c, v22
	v_fmac_f16_e32 v20, 0x38b4, v22
	;; [unrolled: 1-line block ×3, first 2 shown]
	v_add_f16_e32 v13, v13, v16
	v_sub_f16_e32 v22, v12, v8
	v_sub_f16_e32 v8, v8, v10
	v_fmac_f16_e32 v20, 0x34f2, v15
	v_fmac_f16_e32 v17, 0x34f2, v15
	v_add_f16_e32 v13, v13, v10
	v_sub_f16_e32 v10, v12, v16
	v_sub_f16_e32 v12, v9, v14
	;; [unrolled: 1-line block ×3, first 2 shown]
	v_add_f16_e32 v22, v22, v24
	v_fmac_f16_e32 v23, 0x38b4, v19
	v_fmac_f16_e32 v21, 0xb8b4, v19
	v_add_f16_e32 v16, v14, v18
	v_add_f16_e32 v12, v12, v15
	v_lshrrev_b32_e32 v15, 16, v64
	v_fmac_f16_e32 v23, 0x34f2, v22
	v_fmac_f16_e32 v21, 0x34f2, v22
	v_add_f16_e32 v19, v9, v11
	v_add_f16_e32 v22, v15, v9
	v_fma_f16 v16, -0.5, v16, v15
	v_sub_f16_e32 v9, v14, v9
	v_fmac_f16_e32 v15, -0.5, v19
	v_add_f16_e32 v19, v22, v14
	v_sub_f16_e32 v22, v84, v79
	v_add_f16_e32 v14, v19, v18
	v_fmamk_f16 v19, v10, 0x3b9c, v15
	v_fmac_f16_e32 v15, 0xbb9c, v10
	v_add_f16_e32 v14, v14, v11
	v_sub_f16_e32 v11, v18, v11
	v_fmamk_f16 v18, v8, 0xbb9c, v16
	v_fmac_f16_e32 v16, 0x3b9c, v8
	v_fmac_f16_e32 v19, 0xb8b4, v8
	;; [unrolled: 1-line block ×3, first 2 shown]
	v_add_f16_e32 v9, v9, v11
	v_fmac_f16_e32 v18, 0xb8b4, v10
	v_fmac_f16_e32 v16, 0x38b4, v10
	;; [unrolled: 1-line block ×4, first 2 shown]
	v_pack_b32_f16 v9, v13, v14
	v_lshrrev_b32_e32 v13, 16, v65
	v_fmac_f16_e32 v18, 0x34f2, v12
	v_fmac_f16_e32 v16, 0x34f2, v12
	v_add_f16_e32 v12, v65, v69
	v_pack_b32_f16 v10, v21, v15
	v_add_f16_e32 v14, v13, v66
	v_pack_b32_f16 v8, v20, v18
	v_pack_b32_f16 v11, v17, v16
	v_add_f16_e32 v12, v12, v70
	v_sub_f16_e32 v16, v70, v78
	v_add_f16_e32 v14, v14, v71
	ds_write_b32 v144, v8 offset:3000
	v_pack_b32_f16 v8, v23, v19
	v_add_f16_e32 v12, v12, v78
	ds_read2_b32 v[86:87], v137 offset0:122 offset1:247
	ds_read2_b32 v[197:198], v125 offset0:104 offset1:229
	;; [unrolled: 1-line block ×4, first 2 shown]
	v_add_f16_e32 v14, v14, v79
	ds_read2_b32 v[203:204], v168 offset0:50 offset1:175
	ds_read2_b32 v[99:100], v124 offset0:116 offset1:241
	;; [unrolled: 1-line block ×6, first 2 shown]
	v_sub_f16_e32 v15, v66, v84
	v_add_f16_e32 v12, v12, v85
	v_sub_f16_e32 v18, v69, v85
	v_add_f16_e32 v14, v14, v84
	v_sub_f16_e32 v19, v69, v70
	v_sub_f16_e32 v20, v85, v78
	;; [unrolled: 1-line block ×3, first 2 shown]
	v_lshlrev_b32_e32 v23, 4, v77
	v_pack_b32_f16 v12, v12, v14
	ds_write_b32 v144, v8 offset:6000
	ds_write_b32 v144, v10 offset:9000
	;; [unrolled: 1-line block ×3, first 2 shown]
	ds_write2_b32 v144, v9, v12 offset1:125
	v_add_f16_e32 v8, v70, v78
	v_add_f16_e32 v9, v69, v85
	v_sub_f16_e32 v10, v78, v85
	v_add_f16_e32 v11, v66, v84
	v_sub_f16_e32 v12, v79, v84
	v_fma_f16 v8, -0.5, v8, v65
	v_fmac_f16_e32 v65, -0.5, v9
	v_sub_f16_e32 v9, v70, v69
	v_add_f16_e32 v19, v19, v20
	v_add_f16_e32 v20, v21, v22
	v_lshlrev_b32_e32 v21, 4, v122
	v_add_co_u32 v23, s0, s2, v23
	v_add_f16_e32 v9, v9, v10
	v_add_f16_e32 v10, v71, v79
	v_add_co_ci_u32_e64 v24, null, s3, 0, s0
	v_add_co_u32 v21, s0, s2, v21
	v_fma_f16 v10, -0.5, v10, v13
	v_fmac_f16_e32 v13, -0.5, v11
	v_sub_f16_e32 v11, v71, v66
	v_add_co_u32 v64, vcc_lo, 0x800, v23
	v_add_co_ci_u32_e64 v22, null, s3, 0, s0
	v_add_f16_e32 v11, v11, v12
	v_sub_f16_e32 v12, v71, v79
	v_fmamk_f16 v17, v16, 0x3b9c, v13
	v_fmac_f16_e32 v13, 0xbb9c, v16
	s_waitcnt lgkmcnt(11)
	v_lshrrev_b32_e32 v23, 16, v199
	s_waitcnt lgkmcnt(10)
	v_lshrrev_b32_e32 v25, 16, v201
	v_fmamk_f16 v14, v12, 0xbb9c, v65
	v_fmac_f16_e32 v65, 0x3b9c, v12
	v_fmac_f16_e32 v13, 0x38b4, v18
	s_waitcnt lgkmcnt(9)
	v_lshrrev_b32_e32 v27, 16, v203
	v_fmamk_f16 v84, v18, 0xbb9c, v10
	v_lshrrev_b32_e32 v98, 16, v86
	v_fmac_f16_e32 v65, 0xb8b4, v15
	v_fmac_f16_e32 v13, 0x34f2, v11
	;; [unrolled: 1-line block ×10, first 2 shown]
	v_pack_b32_f16 v13, v65, v13
	v_add_co_ci_u32_e32 v65, vcc_lo, 0, v24, vcc_lo
	v_add_co_u32 v66, vcc_lo, 0x800, v21
	v_add_co_ci_u32_e32 v67, vcc_lo, 0, v22, vcc_lo
	s_clause 0x1
	global_load_dwordx4 v[68:71], v[64:65], off offset:940
	global_load_dwordx4 v[64:67], v[66:67], off offset:940
	v_lshrrev_b32_e32 v21, 16, v197
	v_pack_b32_f16 v14, v14, v17
	v_fmac_f16_e32 v10, 0x38b4, v16
	v_lshrrev_b32_e32 v16, 16, v202
	v_fmac_f16_e32 v10, 0x34f2, v20
	s_waitcnt vmcnt(1)
	v_mul_f16_sdwa v22, v197, v68 dst_sel:DWORD dst_unused:UNUSED_PAD src0_sel:DWORD src1_sel:WORD_1
	v_mul_f16_sdwa v24, v199, v69 dst_sel:DWORD dst_unused:UNUSED_PAD src0_sel:DWORD src1_sel:WORD_1
	;; [unrolled: 1-line block ×4, first 2 shown]
	s_waitcnt vmcnt(0)
	v_mul_f16_sdwa v18, v202, v66 dst_sel:DWORD dst_unused:UNUSED_PAD src0_sel:DWORD src1_sel:WORD_1
	v_fmac_f16_e32 v22, v21, v68
	v_mul_f16_sdwa v21, v21, v68 dst_sel:DWORD dst_unused:UNUSED_PAD src0_sel:DWORD src1_sel:WORD_1
	v_fmac_f16_e32 v24, v23, v69
	;; [unrolled: 2-line block ×4, first 2 shown]
	v_mul_f16_sdwa v27, v27, v71 dst_sel:DWORD dst_unused:UNUSED_PAD src0_sel:DWORD src1_sel:WORD_1
	v_fma_f16 v21, v197, v68, -v21
	v_fma_f16 v23, v199, v69, -v23
	;; [unrolled: 1-line block ×3, first 2 shown]
	v_sub_f16_e32 v79, v76, v26
	v_fma_f16 v27, v203, v71, -v27
	v_add_f16_e32 v105, v24, v26
	v_sub_f16_e32 v77, v21, v23
	v_sub_f16_e32 v85, v22, v76
	;; [unrolled: 1-line block ×4, first 2 shown]
	v_fma_f16 v105, -0.5, v105, v98
	v_sub_f16_e32 v106, v21, v27
	v_sub_f16_e32 v108, v23, v25
	;; [unrolled: 1-line block ×3, first 2 shown]
	v_add_f16_e32 v77, v77, v78
	v_sub_f16_e32 v78, v22, v24
	v_fmamk_f16 v107, v106, 0xbb9c, v105
	v_sub_f16_e32 v11, v25, v27
	v_add_f16_e32 v17, v21, v27
	v_fmac_f16_e32 v105, 0x3b9c, v106
	v_add_f16_e32 v78, v78, v79
	v_fmamk_f16 v79, v15, 0x3b9c, v8
	v_fmac_f16_e32 v107, 0xb8b4, v108
	v_add_f16_e32 v9, v9, v11
	v_add_f16_e32 v11, v22, v76
	v_fma_f16 v17, -0.5, v17, v86
	v_fmac_f16_e32 v79, 0x38b4, v12
	v_fmac_f16_e32 v107, 0x34f2, v78
	v_fmac_f16_e32 v8, 0xbb9c, v15
	v_fmac_f16_e32 v105, 0x38b4, v108
	v_fmac_f16_e32 v18, v16, v66
	v_fmac_f16_e32 v79, 0x34f2, v19
	v_fmac_f16_e32 v8, 0xb8b4, v12
	v_fmac_f16_e32 v105, 0x34f2, v78
	v_pack_b32_f16 v79, v79, v84
	v_add_f16_e32 v84, v23, v25
	v_fmac_f16_e32 v8, 0x34f2, v19
	v_lshrrev_b32_e32 v19, 16, v204
	v_fma_f16 v84, -0.5, v84, v86
	v_pack_b32_f16 v8, v8, v10
	v_mul_f16_sdwa v10, v198, v64 dst_sel:DWORD dst_unused:UNUSED_PAD src0_sel:DWORD src1_sel:WORD_1
	v_mul_f16_sdwa v20, v19, v67 dst_sel:DWORD dst_unused:UNUSED_PAD src0_sel:DWORD src1_sel:WORD_1
	v_fmamk_f16 v96, v85, 0x3b9c, v84
	v_fmac_f16_e32 v84, 0xbb9c, v85
	v_fma_f16 v20, v204, v67, -v20
	v_fmac_f16_e32 v96, 0x38b4, v97
	v_fmac_f16_e32 v84, 0xb8b4, v97
	;; [unrolled: 1-line block ×4, first 2 shown]
	v_pack_b32_f16 v96, v96, v107
	ds_write2_b32 v174, v79, v96 offset0:107 offset1:232
	v_add_f16_e32 v79, v98, v22
	v_fmac_f16_e32 v98, -0.5, v11
	v_sub_f16_e32 v11, v24, v22
	v_sub_f16_e32 v22, v26, v76
	v_add_f16_e32 v15, v79, v24
	v_fmamk_f16 v96, v108, 0x3b9c, v98
	v_fmac_f16_e32 v98, 0xbb9c, v108
	v_add_f16_e32 v11, v11, v22
	v_fmamk_f16 v22, v97, 0xbb9c, v17
	v_fmac_f16_e32 v17, 0x3b9c, v97
	v_fmac_f16_e32 v96, 0xb8b4, v106
	;; [unrolled: 1-line block ×3, first 2 shown]
	v_add_f16_e32 v15, v15, v26
	v_fmac_f16_e32 v22, 0x38b4, v85
	v_fmac_f16_e32 v17, 0xb8b4, v85
	;; [unrolled: 1-line block ×4, first 2 shown]
	v_lshrrev_b32_e32 v11, 16, v200
	v_fmac_f16_e32 v22, 0x34f2, v9
	v_fmac_f16_e32 v17, 0x34f2, v9
	v_add_f16_e32 v15, v15, v76
	s_waitcnt lgkmcnt(5)
	v_lshrrev_b32_e32 v108, 16, v212
	v_mul_f16_sdwa v12, v11, v65 dst_sel:DWORD dst_unused:UNUSED_PAD src0_sel:DWORD src1_sel:WORD_1
	v_pack_b32_f16 v22, v22, v96
	v_pack_b32_f16 v9, v17, v98
	v_mul_f16_sdwa v17, v16, v66 dst_sel:DWORD dst_unused:UNUSED_PAD src0_sel:DWORD src1_sel:WORD_1
	v_lshrrev_b32_e32 v96, 16, v208
	v_fma_f16 v12, v200, v65, -v12
	ds_write2_b32 v213, v14, v22 offset0:89 offset1:214
	v_add_f16_e32 v14, v86, v21
	ds_write2_b32 v173, v13, v9 offset0:71 offset1:196
	v_pack_b32_f16 v9, v84, v105
	v_mul_f16_sdwa v13, v200, v65 dst_sel:DWORD dst_unused:UNUSED_PAD src0_sel:DWORD src1_sel:WORD_1
	v_fma_f16 v17, v202, v66, -v17
	v_add_f16_e32 v14, v14, v23
	v_mul_f16_sdwa v21, v204, v67 dst_sel:DWORD dst_unused:UNUSED_PAD src0_sel:DWORD src1_sel:WORD_1
	ds_write2_b32 v214, v8, v9 offset0:53 offset1:178
	v_lshrrev_b32_e32 v8, 16, v198
	v_fmac_f16_e32 v13, v11, v65
	v_add_f16_e32 v14, v14, v25
	v_fmac_f16_e32 v21, v19, v67
	v_sub_f16_e32 v24, v12, v17
	v_mul_f16_sdwa v9, v8, v64 dst_sel:DWORD dst_unused:UNUSED_PAD src0_sel:DWORD src1_sel:WORD_1
	v_fmac_f16_e32 v10, v8, v64
	v_add_f16_e32 v14, v14, v27
	v_sub_f16_e32 v19, v18, v21
	v_lshrrev_b32_e32 v105, 16, v210
	v_fma_f16 v9, v198, v64, -v9
	v_add_f16_e32 v16, v10, v21
	v_pack_b32_f16 v8, v14, v15
	v_lshrrev_b32_e32 v14, 16, v87
	v_sub_f16_e32 v23, v10, v21
	v_add_f16_e32 v11, v87, v9
	v_sub_f16_e32 v26, v9, v20
	v_add_f16_e32 v15, v14, v10
	v_add_f16_e32 v11, v11, v12
	;; [unrolled: 1-line block ×7, first 2 shown]
	v_pack_b32_f16 v11, v11, v15
	v_sub_f16_e32 v15, v17, v20
	ds_write2_b32 v137, v8, v11 offset0:122 offset1:247
	v_add_f16_e32 v8, v12, v17
	v_add_f16_e32 v11, v9, v20
	v_fma_f16 v8, -0.5, v8, v87
	v_fmac_f16_e32 v87, -0.5, v11
	v_sub_f16_e32 v11, v12, v9
	v_sub_f16_e32 v9, v9, v12
	;; [unrolled: 1-line block ×3, first 2 shown]
	v_lshlrev_b32_e32 v17, 4, v121
	v_add_f16_e32 v11, v11, v15
	v_add_f16_e32 v15, v13, v18
	;; [unrolled: 1-line block ×3, first 2 shown]
	v_sub_f16_e32 v12, v21, v18
	v_add_co_u32 v17, s0, s2, v17
	v_fma_f16 v15, -0.5, v15, v14
	v_fmac_f16_e32 v14, -0.5, v16
	v_sub_f16_e32 v16, v13, v10
	v_sub_f16_e32 v10, v10, v13
	v_add_co_ci_u32_e64 v20, null, s3, 0, s0
	v_fmamk_f16 v25, v24, 0x3b9c, v14
	v_add_f16_e32 v16, v16, v19
	v_sub_f16_e32 v19, v13, v18
	v_fmamk_f16 v13, v23, 0x3b9c, v8
	v_fmac_f16_e32 v8, 0xbb9c, v23
	v_add_f16_e32 v10, v10, v12
	v_fmamk_f16 v12, v26, 0xbb9c, v15
	v_fmac_f16_e32 v15, 0x3b9c, v26
	v_fmac_f16_e32 v13, 0x38b4, v19
	;; [unrolled: 1-line block ×3, first 2 shown]
	v_fmamk_f16 v22, v19, 0xbb9c, v87
	v_fmac_f16_e32 v87, 0x3b9c, v19
	v_fmac_f16_e32 v14, 0xbb9c, v24
	;; [unrolled: 1-line block ×4, first 2 shown]
	v_lshlrev_b32_e32 v9, 4, v119
	v_fmac_f16_e32 v12, 0xb8b4, v24
	v_fmac_f16_e32 v15, 0x38b4, v24
	;; [unrolled: 1-line block ×4, first 2 shown]
	v_add_co_u32 v9, s0, s2, v9
	v_add_co_u32 v77, vcc_lo, 0x800, v17
	v_fmac_f16_e32 v12, 0x34f2, v10
	v_fmac_f16_e32 v15, 0x34f2, v10
	v_add_co_ci_u32_e64 v10, null, s3, 0, s0
	v_add_co_ci_u32_e32 v78, vcc_lo, 0, v20, vcc_lo
	v_add_co_u32 v197, vcc_lo, 0x800, v9
	v_fmac_f16_e32 v87, 0x34f2, v11
	v_fmac_f16_e32 v14, 0x34f2, v16
	v_add_co_ci_u32_e32 v198, vcc_lo, 0, v10, vcc_lo
	v_fmac_f16_e32 v22, 0x38b4, v23
	v_fmac_f16_e32 v25, 0xb8b4, v26
	v_pack_b32_f16 v14, v87, v14
	s_clause 0x1
	global_load_dwordx4 v[84:87], v[77:78], off offset:940
	global_load_dwordx4 v[76:79], v[197:198], off offset:940
	v_lshrrev_b32_e32 v9, 16, v205
	v_fmac_f16_e32 v22, 0x34f2, v11
	v_fmac_f16_e32 v25, 0x34f2, v16
	v_lshrrev_b32_e32 v11, 16, v207
	v_lshrrev_b32_e32 v17, 16, v209
	;; [unrolled: 1-line block ×3, first 2 shown]
	v_pack_b32_f16 v8, v8, v15
	v_pack_b32_f16 v22, v22, v25
	ds_write_b32 v144, v22 offset:7500
	ds_write_b32 v144, v14 offset:10500
	ds_write_b32 v144, v8 offset:13500
	v_pack_b32_f16 v12, v13, v12
	s_load_dwordx2 s[0:1], s[4:5], 0x38
	s_mul_i32 s3, s8, 0x1388
	s_mul_i32 s5, s8, 0xffffdae4
	s_waitcnt vmcnt(1)
	v_mul_f16_sdwa v10, v205, v84 dst_sel:DWORD dst_unused:UNUSED_PAD src0_sel:DWORD src1_sel:WORD_1
	v_mul_f16_sdwa v16, v207, v85 dst_sel:DWORD dst_unused:UNUSED_PAD src0_sel:DWORD src1_sel:WORD_1
	;; [unrolled: 1-line block ×4, first 2 shown]
	s_waitcnt vmcnt(0)
	v_mul_f16_sdwa v98, v208, v77 dst_sel:DWORD dst_unused:UNUSED_PAD src0_sel:DWORD src1_sel:WORD_1
	v_fmac_f16_e32 v10, v9, v84
	v_mul_f16_sdwa v9, v9, v84 dst_sel:DWORD dst_unused:UNUSED_PAD src0_sel:DWORD src1_sel:WORD_1
	v_fmac_f16_e32 v16, v11, v85
	;; [unrolled: 2-line block ×4, first 2 shown]
	v_mul_f16_sdwa v19, v19, v87 dst_sel:DWORD dst_unused:UNUSED_PAD src0_sel:DWORD src1_sel:WORD_1
	v_fma_f16 v9, v205, v84, -v9
	v_fma_f16 v11, v207, v85, -v11
	;; [unrolled: 1-line block ×3, first 2 shown]
	v_sub_f16_e32 v15, v10, v16
	v_fma_f16 v19, v211, v87, -v19
	v_add_f16_e32 v24, v16, v18
	v_sub_f16_e32 v21, v9, v11
	v_add_f16_e32 v8, v11, v17
	v_sub_f16_e32 v13, v10, v20
	v_sub_f16_e32 v23, v19, v17
	;; [unrolled: 1-line block ×4, first 2 shown]
	v_fma_f16 v8, -0.5, v8, v99
	v_sub_f16_e32 v27, v11, v17
	v_add_f16_e32 v21, v21, v23
	v_sub_f16_e32 v23, v20, v18
	v_mul_f16_sdwa v97, v96, v77 dst_sel:DWORD dst_unused:UNUSED_PAD src0_sel:DWORD src1_sel:WORD_1
	v_fmamk_f16 v14, v13, 0x3b9c, v8
	v_fmac_f16_e32 v98, v96, v77
	v_mul_f16_sdwa v107, v210, v78 dst_sel:DWORD dst_unused:UNUSED_PAD src0_sel:DWORD src1_sel:WORD_1
	v_add_f16_e32 v15, v15, v23
	v_lshrrev_b32_e32 v23, 16, v99
	v_fmac_f16_e32 v14, 0x38b4, v22
	v_mul_f16_sdwa v106, v105, v78 dst_sel:DWORD dst_unused:UNUSED_PAD src0_sel:DWORD src1_sel:WORD_1
	v_mul_f16_sdwa v119, v212, v79 dst_sel:DWORD dst_unused:UNUSED_PAD src0_sel:DWORD src1_sel:WORD_1
	v_fmac_f16_e32 v107, v105, v78
	v_fma_f16 v24, -0.5, v24, v23
	v_fmac_f16_e32 v14, 0x34f2, v21
	v_add_f16_e32 v96, v23, v10
	v_lshrrev_b32_e32 v105, 16, v100
	v_fma_f16 v97, v208, v77, -v97
	v_fmamk_f16 v26, v25, 0xbb9c, v24
	v_mul_f16_sdwa v117, v108, v79 dst_sel:DWORD dst_unused:UNUSED_PAD src0_sel:DWORD src1_sel:WORD_1
	v_add_f16_e32 v96, v96, v16
	v_fmac_f16_e32 v119, v108, v79
	v_fma_f16 v106, v210, v78, -v106
	v_fmac_f16_e32 v26, 0xb8b4, v27
	v_fma_f16 v117, v212, v79, -v117
	v_add_f16_e32 v96, v96, v18
	v_fmac_f16_e32 v24, 0x3b9c, v25
	v_fmac_f16_e32 v8, 0xbb9c, v13
	;; [unrolled: 1-line block ×3, first 2 shown]
	v_add_f16_e32 v96, v96, v20
	v_fmac_f16_e32 v24, 0x38b4, v27
	v_fmac_f16_e32 v8, 0xb8b4, v22
	v_pack_b32_f16 v14, v14, v26
	v_mul_f16_sdwa v26, v206, v76 dst_sel:DWORD dst_unused:UNUSED_PAD src0_sel:DWORD src1_sel:WORD_1
	v_fmac_f16_e32 v24, 0x34f2, v15
	v_fmac_f16_e32 v8, 0x34f2, v21
	ds_write2_b32 v178, v12, v14 offset0:101 offset1:226
	v_lshrrev_b32_e32 v12, 16, v206
	v_pack_b32_f16 v8, v8, v24
	v_mul_f16_sdwa v14, v12, v76 dst_sel:DWORD dst_unused:UNUSED_PAD src0_sel:DWORD src1_sel:WORD_1
	v_fmac_f16_e32 v26, v12, v76
	v_add_f16_e32 v12, v99, v9
	v_fma_f16 v14, v206, v76, -v14
	v_add_f16_e32 v108, v105, v26
	v_add_f16_e32 v12, v12, v11
	v_sub_f16_e32 v11, v11, v9
	v_add_f16_e32 v9, v9, v19
	v_sub_f16_e32 v121, v14, v117
	v_add_f16_e32 v108, v108, v98
	v_add_f16_e32 v12, v12, v17
	v_sub_f16_e32 v17, v17, v19
	v_fma_f16 v9, -0.5, v9, v99
	v_add_f16_e32 v108, v108, v107
	v_add_f16_e32 v12, v12, v19
	;; [unrolled: 1-line block ×3, first 2 shown]
	v_sub_f16_e32 v17, v106, v117
	v_sub_f16_e32 v19, v107, v119
	v_add_f16_e32 v108, v108, v119
	v_pack_b32_f16 v12, v12, v96
	v_add_f16_e32 v96, v100, v14
	v_add_f16_e32 v96, v96, v97
	;; [unrolled: 1-line block ×4, first 2 shown]
	v_pack_b32_f16 v96, v96, v108
	v_sub_f16_e32 v108, v97, v106
	ds_write2_b32 v124, v12, v96 offset0:116 offset1:241
	v_sub_f16_e32 v12, v16, v10
	v_add_f16_e32 v10, v10, v20
	v_sub_f16_e32 v16, v18, v20
	v_add_f16_e32 v18, v26, v119
	v_sub_f16_e32 v96, v26, v119
	v_fmac_f16_e32 v23, -0.5, v10
	v_add_f16_e32 v10, v12, v16
	v_add_f16_e32 v12, v97, v106
	;; [unrolled: 1-line block ×3, first 2 shown]
	v_fmamk_f16 v20, v27, 0x3b9c, v23
	v_fmac_f16_e32 v23, 0xbb9c, v27
	v_fma_f16 v12, -0.5, v12, v100
	v_fmac_f16_e32 v100, -0.5, v16
	v_sub_f16_e32 v16, v97, v14
	v_fmac_f16_e32 v20, 0xb8b4, v25
	v_fmac_f16_e32 v23, 0x38b4, v25
	v_add_f16_e32 v16, v16, v17
	v_add_f16_e32 v17, v98, v107
	v_fmac_f16_e32 v20, 0x34f2, v10
	v_fmac_f16_e32 v23, 0x34f2, v10
	v_sub_f16_e32 v10, v117, v106
	v_mov_b32_e32 v106, v154
	v_fma_f16 v17, -0.5, v17, v105
	v_fmac_f16_e32 v105, -0.5, v18
	v_sub_f16_e32 v18, v98, v26
	v_fmamk_f16 v15, v121, 0xbb9c, v17
	v_fmamk_f16 v122, v108, 0x3b9c, v105
	v_add_f16_e32 v18, v18, v19
	v_fmamk_f16 v19, v22, 0xbb9c, v9
	v_fmac_f16_e32 v105, 0xbb9c, v108
	v_fmac_f16_e32 v9, 0x3b9c, v22
	v_fmac_f16_e32 v17, 0x3b9c, v121
	v_fmac_f16_e32 v122, 0xb8b4, v121
	v_fmac_f16_e32 v19, 0x38b4, v13
	v_fmac_f16_e32 v105, 0x38b4, v121
	v_fmac_f16_e32 v9, 0xb8b4, v13
	v_sub_f16_e32 v13, v119, v107
	v_fmac_f16_e32 v17, 0x38b4, v108
	v_fmac_f16_e32 v19, 0x34f2, v11
	;; [unrolled: 1-line block ×4, first 2 shown]
	v_sub_f16_e32 v11, v26, v98
	v_fmac_f16_e32 v15, 0xb8b4, v108
	v_pack_b32_f16 v19, v19, v20
	v_sub_f16_e32 v20, v98, v107
	v_pack_b32_f16 v9, v9, v23
	v_fmac_f16_e32 v122, 0x34f2, v18
	v_add_co_u32 v98, vcc_lo, 0x3a98, v149
	v_fmamk_f16 v99, v20, 0xbb9c, v100
	v_fmac_f16_e32 v100, 0x3b9c, v20
	v_mov_b32_e32 v108, v127
	v_fmac_f16_e32 v99, 0x38b4, v96
	v_fmac_f16_e32 v100, 0xb8b4, v96
	;; [unrolled: 1-line block ×4, first 2 shown]
	v_pack_b32_f16 v99, v99, v122
	v_pack_b32_f16 v16, v100, v105
	ds_write2_b32 v166, v19, v99 offset0:80 offset1:205
	ds_write2_b32 v139, v9, v16 offset0:62 offset1:187
	v_sub_f16_e32 v9, v14, v97
	v_fmamk_f16 v14, v96, 0x3b9c, v12
	v_fmac_f16_e32 v12, 0xbb9c, v96
	v_add_co_ci_u32_e32 v99, vcc_lo, 0, v150, vcc_lo
	v_add_f16_e32 v9, v9, v10
	v_add_f16_e32 v10, v11, v13
	v_fmac_f16_e32 v12, 0xb8b4, v20
	v_fmac_f16_e32 v14, 0x38b4, v20
	v_add_co_u32 v197, vcc_lo, 0x4800, v149
	v_fmac_f16_e32 v17, 0x34f2, v10
	v_fmac_f16_e32 v12, 0x34f2, v9
	;; [unrolled: 1-line block ×4, first 2 shown]
	v_add_co_ci_u32_e32 v198, vcc_lo, 0, v150, vcc_lo
	v_pack_b32_f16 v11, v12, v17
	v_add_co_u32 v201, vcc_lo, 0x5000, v149
	v_add_co_ci_u32_e32 v202, vcc_lo, 0, v150, vcc_lo
	ds_write2_b32 v146, v8, v11 offset0:44 offset1:169
	v_pack_b32_f16 v8, v14, v15
	v_add_co_u32 v203, vcc_lo, 0x6000, v149
	v_add_co_ci_u32_e32 v204, vcc_lo, 0, v150, vcc_lo
	ds_write_b32 v144, v8 offset:5500
	s_waitcnt lgkmcnt(0)
	s_barrier
	buffer_gl0_inv
	global_load_dword v97, v[152:153], off offset:664
	ds_read2_b32 v[199:200], v144 offset1:125
	s_clause 0x5
	global_load_dword v9, v[98:99], off offset:500
	global_load_dword v10, v[98:99], off offset:2000
	;; [unrolled: 1-line block ×6, first 2 shown]
	v_add_co_u32 v156, vcc_lo, 0x6800, v149
	v_add_co_ci_u32_e32 v157, vcc_lo, 0, v150, vcc_lo
	v_add_co_u32 v210, vcc_lo, 0x4000, v149
	v_add_co_ci_u32_e32 v211, vcc_lo, 0, v150, vcc_lo
	s_waitcnt lgkmcnt(0)
	v_lshrrev_b32_e32 v8, 16, v199
	s_waitcnt vmcnt(6)
	v_mul_f16_sdwa v15, v199, v97 dst_sel:DWORD dst_unused:UNUSED_PAD src0_sel:DWORD src1_sel:WORD_1
	v_fmac_f16_e32 v15, v8, v97
	v_mul_f16_sdwa v8, v8, v97 dst_sel:DWORD dst_unused:UNUSED_PAD src0_sel:DWORD src1_sel:WORD_1
	v_fma_f16 v8, v199, v97, -v8
	v_pack_b32_f16 v8, v8, v15
	ds_write_b32 v144, v8
	s_clause 0x1
	global_load_dword v8, v[201:202], off offset:20
	global_load_dword v15, v[201:202], off offset:520
	ds_read2_b32 v[205:206], v127 offset0:98 offset1:223
	s_clause 0x1
	global_load_dword v17, v[201:202], off offset:1020
	global_load_dword v18, v[203:204], off offset:1924
	v_mov_b32_e32 v127, v139
	s_waitcnt lgkmcnt(0)
	v_lshrrev_b32_e32 v16, 16, v206
	s_waitcnt vmcnt(3)
	v_mul_f16_sdwa v19, v206, v8 dst_sel:DWORD dst_unused:UNUSED_PAD src0_sel:DWORD src1_sel:WORD_1
	v_fmac_f16_e32 v19, v16, v8
	v_mul_f16_sdwa v16, v16, v8 dst_sel:DWORD dst_unused:UNUSED_PAD src0_sel:DWORD src1_sel:WORD_1
	v_fma_f16 v8, v206, v8, -v16
	ds_read2_b32 v[206:207], v154 offset0:92 offset1:217
	v_pack_b32_f16 v8, v8, v19
	s_waitcnt lgkmcnt(0)
	v_lshrrev_b32_e32 v16, 16, v206
	s_waitcnt vmcnt(2)
	v_mul_f16_sdwa v20, v206, v15 dst_sel:DWORD dst_unused:UNUSED_PAD src0_sel:DWORD src1_sel:WORD_1
	v_fmac_f16_e32 v20, v16, v15
	v_mul_f16_sdwa v16, v16, v15 dst_sel:DWORD dst_unused:UNUSED_PAD src0_sel:DWORD src1_sel:WORD_1
	v_fma_f16 v15, v206, v15, -v16
	v_add_nc_u32_e32 v16, 0x1400, v144
	v_pack_b32_f16 v15, v15, v20
	ds_write2_b32 v16, v8, v15 offset0:95 offset1:220
	s_clause 0x2
	global_load_dword v8, v[203:204], off offset:924
	global_load_dword v15, v[203:204], off offset:1424
	;; [unrolled: 1-line block ×3, first 2 shown]
	ds_read2_b32 v[203:204], v135 offset0:68 offset1:193
	ds_read2_b32 v[208:209], v139 offset0:62 offset1:187
	v_mov_b32_e32 v139, v166
	s_waitcnt lgkmcnt(1)
	v_lshrrev_b32_e32 v19, 16, v204
	s_waitcnt vmcnt(2)
	v_mul_f16_sdwa v20, v204, v8 dst_sel:DWORD dst_unused:UNUSED_PAD src0_sel:DWORD src1_sel:WORD_1
	s_waitcnt vmcnt(1) lgkmcnt(0)
	v_mul_f16_sdwa v21, v208, v15 dst_sel:DWORD dst_unused:UNUSED_PAD src0_sel:DWORD src1_sel:WORD_1
	v_fmac_f16_e32 v20, v19, v8
	v_mul_f16_sdwa v19, v19, v8 dst_sel:DWORD dst_unused:UNUSED_PAD src0_sel:DWORD src1_sel:WORD_1
	v_fma_f16 v8, v204, v8, -v19
	v_lshrrev_b32_e32 v19, 16, v208
	v_pack_b32_f16 v8, v8, v20
	v_fmac_f16_e32 v21, v19, v15
	v_mul_f16_sdwa v19, v19, v15 dst_sel:DWORD dst_unused:UNUSED_PAD src0_sel:DWORD src1_sel:WORD_1
	v_fma_f16 v15, v208, v15, -v19
	v_add_nc_u32_e32 v19, 0x2800, v144
	v_pack_b32_f16 v15, v15, v21
	ds_write2_b32 v19, v8, v15 offset0:65 offset1:190
	global_load_dword v8, v[98:99], off offset:1500
	ds_read2_b32 v[97:98], v137 offset0:122 offset1:247
	s_waitcnt lgkmcnt(0)
	v_lshrrev_b32_e32 v15, 16, v98
	s_waitcnt vmcnt(0)
	v_mul_f16_sdwa v19, v98, v8 dst_sel:DWORD dst_unused:UNUSED_PAD src0_sel:DWORD src1_sel:WORD_1
	v_fmac_f16_e32 v19, v15, v8
	v_mul_f16_sdwa v15, v15, v8 dst_sel:DWORD dst_unused:UNUSED_PAD src0_sel:DWORD src1_sel:WORD_1
	v_fma_f16 v8, v98, v8, -v15
	ds_read2_b32 v[98:99], v124 offset0:116 offset1:241
	v_pack_b32_f16 v8, v8, v19
	s_waitcnt lgkmcnt(0)
	v_lshrrev_b32_e32 v15, 16, v98
	v_mul_f16_sdwa v20, v98, v10 dst_sel:DWORD dst_unused:UNUSED_PAD src0_sel:DWORD src1_sel:WORD_1
	v_fmac_f16_e32 v20, v15, v10
	v_mul_f16_sdwa v15, v15, v10 dst_sel:DWORD dst_unused:UNUSED_PAD src0_sel:DWORD src1_sel:WORD_1
	v_fma_f16 v10, v98, v10, -v15
	v_add_nc_u32_e32 v15, 0x400, v144
	v_pack_b32_f16 v10, v10, v20
	ds_write2_b32 v15, v8, v10 offset0:119 offset1:244
	v_lshrrev_b32_e32 v8, 16, v209
	v_mul_f16_sdwa v15, v209, v18 dst_sel:DWORD dst_unused:UNUSED_PAD src0_sel:DWORD src1_sel:WORD_1
	v_mul_f16_sdwa v10, v8, v18 dst_sel:DWORD dst_unused:UNUSED_PAD src0_sel:DWORD src1_sel:WORD_1
	v_fmac_f16_e32 v15, v8, v18
	global_load_dword v8, v[156:157], off offset:376
	v_fma_f16 v10, v209, v18, -v10
	ds_read2_b32 v[208:209], v120 offset0:56 offset1:181
	s_clause 0x2
	global_load_dword v19, v[156:157], off offset:876
	global_load_dword v20, v[156:157], off offset:1376
	;; [unrolled: 1-line block ×3, first 2 shown]
	v_pack_b32_f16 v10, v10, v15
	v_add_nc_u32_e32 v15, 0x2c00, v144
	s_waitcnt lgkmcnt(0)
	v_lshrrev_b32_e32 v18, 16, v208
	s_waitcnt vmcnt(3)
	v_mul_f16_sdwa v22, v208, v8 dst_sel:DWORD dst_unused:UNUSED_PAD src0_sel:DWORD src1_sel:WORD_1
	v_fmac_f16_e32 v22, v18, v8
	v_mul_f16_sdwa v18, v18, v8 dst_sel:DWORD dst_unused:UNUSED_PAD src0_sel:DWORD src1_sel:WORD_1
	v_fma_f16 v8, v208, v8, -v18
	v_lshrrev_b32_e32 v18, 16, v99
	v_pack_b32_f16 v8, v8, v22
	ds_write2_b32 v15, v10, v8 offset0:59 offset1:184
	s_clause 0x2
	global_load_dword v8, v[210:211], off offset:1116
	global_load_dword v10, v[210:211], off offset:1616
	;; [unrolled: 1-line block ×3, first 2 shown]
	ds_read2_b32 v[155:156], v167 offset0:86 offset1:211
	v_mov_b32_e32 v211, v106
	v_mov_b32_e32 v210, v167
	s_waitcnt vmcnt(2)
	v_mul_f16_sdwa v22, v18, v8 dst_sel:DWORD dst_unused:UNUSED_PAD src0_sel:DWORD src1_sel:WORD_1
	v_mul_f16_sdwa v23, v99, v8 dst_sel:DWORD dst_unused:UNUSED_PAD src0_sel:DWORD src1_sel:WORD_1
	v_fma_f16 v22, v99, v8, -v22
	ds_read2_b32 v[98:99], v128 offset0:110 offset1:235
	v_fmac_f16_e32 v23, v18, v8
	s_waitcnt lgkmcnt(0)
	v_lshrrev_b32_e32 v8, 16, v98
	s_waitcnt vmcnt(1)
	v_mul_f16_sdwa v18, v98, v10 dst_sel:DWORD dst_unused:UNUSED_PAD src0_sel:DWORD src1_sel:WORD_1
	v_fmac_f16_e32 v18, v8, v10
	v_mul_f16_sdwa v8, v8, v10 dst_sel:DWORD dst_unused:UNUSED_PAD src0_sel:DWORD src1_sel:WORD_1
	v_fma_f16 v8, v98, v10, -v8
	v_pack_b32_f16 v10, v22, v23
	v_pack_b32_f16 v8, v8, v18
	v_add_nc_u32_e32 v18, 0x800, v144
	ds_write2_b32 v18, v10, v8 offset0:113 offset1:238
	v_lshrrev_b32_e32 v10, 16, v156
	v_mul_f16_sdwa v18, v156, v21 dst_sel:DWORD dst_unused:UNUSED_PAD src0_sel:DWORD src1_sel:WORD_1
	global_load_dword v8, v[201:202], off offset:1520
	v_fmac_f16_e32 v18, v10, v21
	v_mul_f16_sdwa v10, v10, v21 dst_sel:DWORD dst_unused:UNUSED_PAD src0_sel:DWORD src1_sel:WORD_1
	v_fma_f16 v10, v156, v21, -v10
	v_add_co_u32 v156, vcc_lo, 0x5800, v149
	v_add_co_ci_u32_e32 v157, vcc_lo, 0, v150, vcc_lo
	v_add_co_u32 v149, vcc_lo, 0x7000, v149
	v_add_co_ci_u32_e32 v150, vcc_lo, 0, v150, vcc_lo
	s_clause 0x4
	global_load_dword v21, v[156:157], off offset:472
	global_load_dword v22, v[156:157], off offset:972
	global_load_dword v23, v[156:157], off offset:1472
	global_load_dword v24, v[149:150], off offset:828
	global_load_dword v25, v[156:157], off offset:1972
	ds_read2_b32 v[156:157], v166 offset0:80 offset1:205
	v_pack_b32_f16 v10, v10, v18
	ds_read2_b32 v[153:154], v146 offset0:44 offset1:169
	s_waitcnt lgkmcnt(1)
	v_lshrrev_b32_e32 v26, 16, v156
	s_waitcnt vmcnt(4)
	v_mul_f16_sdwa v27, v156, v21 dst_sel:DWORD dst_unused:UNUSED_PAD src0_sel:DWORD src1_sel:WORD_1
	v_fmac_f16_e32 v27, v26, v21
	v_mul_f16_sdwa v26, v26, v21 dst_sel:DWORD dst_unused:UNUSED_PAD src0_sel:DWORD src1_sel:WORD_1
	v_fma_f16 v21, v156, v21, -v26
	v_mul_f16_sdwa v26, v203, v16 dst_sel:DWORD dst_unused:UNUSED_PAD src0_sel:DWORD src1_sel:WORD_1
	v_pack_b32_f16 v18, v21, v27
	v_add_nc_u32_e32 v21, 0x1c00, v144
	ds_write2_b32 v21, v10, v18 offset0:83 offset1:208
	v_lshrrev_b32_e32 v10, 16, v157
	s_waitcnt vmcnt(3)
	v_mul_f16_sdwa v21, v157, v22 dst_sel:DWORD dst_unused:UNUSED_PAD src0_sel:DWORD src1_sel:WORD_1
	v_mul_f16_sdwa v18, v10, v22 dst_sel:DWORD dst_unused:UNUSED_PAD src0_sel:DWORD src1_sel:WORD_1
	v_fmac_f16_e32 v21, v10, v22
	v_fma_f16 v18, v157, v22, -v18
	ds_read2_b32 v[156:157], v147 offset0:74 offset1:199
	v_pack_b32_f16 v18, v18, v21
	v_add_nc_u32_e32 v21, 0x2000, v144
	s_waitcnt lgkmcnt(0)
	v_lshrrev_b32_e32 v10, 16, v156
	s_waitcnt vmcnt(2)
	v_mul_f16_sdwa v22, v156, v23 dst_sel:DWORD dst_unused:UNUSED_PAD src0_sel:DWORD src1_sel:WORD_1
	v_fmac_f16_e32 v22, v10, v23
	v_mul_f16_sdwa v10, v10, v23 dst_sel:DWORD dst_unused:UNUSED_PAD src0_sel:DWORD src1_sel:WORD_1
	v_fma_f16 v10, v156, v23, -v10
	v_mul_f16_sdwa v23, v97, v14 dst_sel:DWORD dst_unused:UNUSED_PAD src0_sel:DWORD src1_sel:WORD_1
	v_pack_b32_f16 v10, v10, v22
	ds_write2_b32 v21, v18, v10 offset0:77 offset1:202
	global_load_dword v10, v[149:150], off offset:328
	ds_read2_b32 v[149:150], v123 offset0:50 offset1:175
	s_waitcnt lgkmcnt(0)
	v_lshrrev_b32_e32 v18, 16, v150
	v_mul_f16_sdwa v21, v150, v15 dst_sel:DWORD dst_unused:UNUSED_PAD src0_sel:DWORD src1_sel:WORD_1
	v_fmac_f16_e32 v21, v18, v15
	v_mul_f16_sdwa v18, v18, v15 dst_sel:DWORD dst_unused:UNUSED_PAD src0_sel:DWORD src1_sel:WORD_1
	v_fma_f16 v15, v150, v15, -v18
	v_lshrrev_b32_e32 v18, 16, v153
	v_pack_b32_f16 v15, v15, v21
	s_waitcnt vmcnt(0)
	v_mul_f16_sdwa v22, v153, v10 dst_sel:DWORD dst_unused:UNUSED_PAD src0_sel:DWORD src1_sel:WORD_1
	v_fmac_f16_e32 v22, v18, v10
	v_mul_f16_sdwa v18, v18, v10 dst_sel:DWORD dst_unused:UNUSED_PAD src0_sel:DWORD src1_sel:WORD_1
	v_fma_f16 v10, v153, v10, -v18
	v_add_nc_u32_e32 v18, 0x3400, v144
	v_pack_b32_f16 v10, v10, v22
	v_mul_f16_sdwa v22, v200, v9 dst_sel:DWORD dst_unused:UNUSED_PAD src0_sel:DWORD src1_sel:WORD_1
	ds_write2_b32 v18, v15, v10 offset0:47 offset1:172
	global_load_dword v10, v[197:198], off offset:1568
	v_lshrrev_b32_e32 v15, 16, v205
	s_waitcnt vmcnt(0)
	v_mul_f16_sdwa v18, v15, v10 dst_sel:DWORD dst_unused:UNUSED_PAD src0_sel:DWORD src1_sel:WORD_1
	v_mul_f16_sdwa v21, v205, v10 dst_sel:DWORD dst_unused:UNUSED_PAD src0_sel:DWORD src1_sel:WORD_1
	v_fma_f16 v18, v205, v10, -v18
	v_fmac_f16_e32 v21, v15, v10
	v_lshrrev_b32_e32 v10, 16, v200
	v_mul_f16_sdwa v15, v10, v9 dst_sel:DWORD dst_unused:UNUSED_PAD src0_sel:DWORD src1_sel:WORD_1
	v_fmac_f16_e32 v22, v10, v9
	v_fma_f16 v15, v200, v9, -v15
	v_lshrrev_b32_e32 v9, 16, v97
	v_mul_f16_sdwa v10, v9, v14 dst_sel:DWORD dst_unused:UNUSED_PAD src0_sel:DWORD src1_sel:WORD_1
	v_fmac_f16_e32 v23, v9, v14
	v_lshrrev_b32_e32 v9, 16, v203
	v_fma_f16 v10, v97, v14, -v10
	ds_read2_b32 v[97:98], v125 offset0:104 offset1:229
	v_mul_f16_sdwa v14, v9, v16 dst_sel:DWORD dst_unused:UNUSED_PAD src0_sel:DWORD src1_sel:WORD_1
	v_fmac_f16_e32 v26, v9, v16
	v_pack_b32_f16 v9, v15, v22
	v_pack_b32_f16 v10, v10, v23
	v_mul_f16_sdwa v15, v207, v17 dst_sel:DWORD dst_unused:UNUSED_PAD src0_sel:DWORD src1_sel:WORD_1
	v_fma_f16 v14, v203, v16, -v14
	v_mul_f16_sdwa v22, v209, v19 dst_sel:DWORD dst_unused:UNUSED_PAD src0_sel:DWORD src1_sel:WORD_1
	v_mul_f16_sdwa v23, v149, v20 dst_sel:DWORD dst_unused:UNUSED_PAD src0_sel:DWORD src1_sel:WORD_1
	ds_write2_b32 v144, v9, v10 offset0:125 offset1:250
	v_lshrrev_b32_e32 v9, 16, v207
	v_mul_f16_sdwa v10, v9, v17 dst_sel:DWORD dst_unused:UNUSED_PAD src0_sel:DWORD src1_sel:WORD_1
	v_fmac_f16_e32 v15, v9, v17
	v_lshrrev_b32_e32 v9, 16, v155
	v_fma_f16 v10, v207, v17, -v10
	v_mul_f16_sdwa v17, v155, v8 dst_sel:DWORD dst_unused:UNUSED_PAD src0_sel:DWORD src1_sel:WORD_1
	v_mul_f16_sdwa v16, v9, v8 dst_sel:DWORD dst_unused:UNUSED_PAD src0_sel:DWORD src1_sel:WORD_1
	v_fmac_f16_e32 v17, v9, v8
	v_fma_f16 v16, v155, v8, -v16
	v_lshrrev_b32_e32 v8, 16, v209
	v_mul_f16_sdwa v9, v8, v19 dst_sel:DWORD dst_unused:UNUSED_PAD src0_sel:DWORD src1_sel:WORD_1
	v_fmac_f16_e32 v22, v8, v19
	v_lshrrev_b32_e32 v8, 16, v149
	v_fma_f16 v9, v209, v19, -v9
	v_mov_b32_e32 v209, v120
	v_mul_f16_sdwa v19, v8, v20 dst_sel:DWORD dst_unused:UNUSED_PAD src0_sel:DWORD src1_sel:WORD_1
	v_fmac_f16_e32 v23, v8, v20
	v_pack_b32_f16 v8, v10, v15
	v_pack_b32_f16 v10, v16, v17
	s_waitcnt lgkmcnt(1)
	v_mul_f16_sdwa v16, v98, v13 dst_sel:DWORD dst_unused:UNUSED_PAD src0_sel:DWORD src1_sel:WORD_1
	v_fma_f16 v19, v149, v20, -v19
	ds_write2_b32 v213, v8, v10 offset0:89 offset1:214
	v_pack_b32_f16 v8, v9, v22
	v_pack_b32_f16 v9, v19, v23
	v_mul_f16_sdwa v10, v99, v11 dst_sel:DWORD dst_unused:UNUSED_PAD src0_sel:DWORD src1_sel:WORD_1
	ds_write2_b32 v214, v8, v9 offset0:53 offset1:178
	v_lshrrev_b32_e32 v8, 16, v99
	v_mul_f16_sdwa v9, v8, v11 dst_sel:DWORD dst_unused:UNUSED_PAD src0_sel:DWORD src1_sel:WORD_1
	v_fmac_f16_e32 v10, v8, v11
	v_lshrrev_b32_e32 v8, 16, v97
	v_fma_f16 v9, v99, v11, -v9
	v_mul_f16_sdwa v11, v97, v12 dst_sel:DWORD dst_unused:UNUSED_PAD src0_sel:DWORD src1_sel:WORD_1
	v_pack_b32_f16 v9, v9, v10
	v_fmac_f16_e32 v11, v8, v12
	v_mul_f16_sdwa v8, v8, v12 dst_sel:DWORD dst_unused:UNUSED_PAD src0_sel:DWORD src1_sel:WORD_1
	v_mul_f16_sdwa v10, v157, v25 dst_sel:DWORD dst_unused:UNUSED_PAD src0_sel:DWORD src1_sel:WORD_1
	v_fma_f16 v8, v97, v12, -v8
	v_lshrrev_b32_e32 v12, 16, v98
	v_pack_b32_f16 v8, v8, v11
	v_mul_f16_sdwa v15, v12, v13 dst_sel:DWORD dst_unused:UNUSED_PAD src0_sel:DWORD src1_sel:WORD_1
	v_fmac_f16_e32 v16, v12, v13
	v_mul_f16_sdwa v12, v154, v24 dst_sel:DWORD dst_unused:UNUSED_PAD src0_sel:DWORD src1_sel:WORD_1
	ds_write2_b32 v174, v9, v8 offset0:107 offset1:232
	v_fma_f16 v15, v98, v13, -v15
	v_pack_b32_f16 v8, v18, v21
	v_pack_b32_f16 v9, v15, v16
	ds_write2_b32 v178, v9, v8 offset0:101 offset1:226
	v_lshrrev_b32_e32 v8, 16, v157
	v_mul_f16_sdwa v9, v8, v25 dst_sel:DWORD dst_unused:UNUSED_PAD src0_sel:DWORD src1_sel:WORD_1
	v_fmac_f16_e32 v10, v8, v25
	v_lshrrev_b32_e32 v8, 16, v154
	v_fma_f16 v9, v157, v25, -v9
	v_mul_f16_sdwa v11, v8, v24 dst_sel:DWORD dst_unused:UNUSED_PAD src0_sel:DWORD src1_sel:WORD_1
	v_fmac_f16_e32 v12, v8, v24
	v_pack_b32_f16 v8, v14, v26
	v_pack_b32_f16 v9, v9, v10
	v_fma_f16 v11, v154, v24, -v11
	ds_write2_b32 v173, v9, v8 offset0:71 offset1:196
	v_pack_b32_f16 v8, v11, v12
	ds_write_b32 v144, v8 offset:14500
	s_waitcnt lgkmcnt(0)
	s_barrier
	buffer_gl0_inv
	ds_read2_b32 v[97:98], v137 offset0:122 offset1:247
	ds_read2_b32 v[99:100], v106 offset0:92 offset1:217
	;; [unrolled: 1-line block ×3, first 2 shown]
	s_waitcnt lgkmcnt(1)
	v_pk_add_f16 v8, v97, v99
	s_waitcnt lgkmcnt(0)
	v_pk_add_f16 v9, v99, v149
	v_pk_add_f16 v10, v98, v100
	;; [unrolled: 1-line block ×3, first 2 shown]
	v_pk_add_f16 v11, v99, v149 neg_lo:[0,1] neg_hi:[0,1]
	v_pk_add_f16 v13, v100, v150 neg_lo:[0,1] neg_hi:[0,1]
	v_pk_add_f16 v8, v8, v149
	v_pk_add_f16 v10, v10, v150
	v_pk_fma_f16 v9, v9, 0.5, v97 op_sel_hi:[1,0,1] neg_lo:[1,0,0] neg_hi:[1,0,0]
	v_pk_fma_f16 v12, v12, 0.5, v98 op_sel_hi:[1,0,1] neg_lo:[1,0,0] neg_hi:[1,0,0]
	ds_read2_b32 v[97:98], v124 offset0:116 offset1:241
	ds_read2_b32 v[99:100], v167 offset0:86 offset1:211
	;; [unrolled: 1-line block ×3, first 2 shown]
	v_mov_b32_e32 v120, v146
	v_pk_mul_f16 v11, 0x3aee, v11 op_sel_hi:[0,1]
	s_waitcnt lgkmcnt(1)
	v_pk_add_f16 v14, v97, v99
	s_waitcnt lgkmcnt(0)
	v_pk_add_f16 v15, v99, v149
	v_pk_add_f16 v16, v98, v100
	v_pk_add_f16 v18, v100, v150
	v_pk_add_f16 v17, v99, v149 neg_lo:[0,1] neg_hi:[0,1]
	v_pk_add_f16 v19, v100, v150 neg_lo:[0,1] neg_hi:[0,1]
	v_pk_add_f16 v14, v14, v149
	v_pk_add_f16 v16, v16, v150
	v_pk_fma_f16 v15, v15, 0.5, v97 op_sel_hi:[1,0,1] neg_lo:[1,0,0] neg_hi:[1,0,0]
	v_pk_fma_f16 v18, v18, 0.5, v98 op_sel_hi:[1,0,1] neg_lo:[1,0,0] neg_hi:[1,0,0]
	ds_read2_b32 v[97:98], v128 offset0:110 offset1:235
	ds_read2_b32 v[99:100], v166 offset0:80 offset1:205
	ds_read2_b32 v[149:150], v123 offset0:50 offset1:175
	v_mov_b32_e32 v123, v147
	s_waitcnt lgkmcnt(1)
	v_pk_add_f16 v20, v97, v99
	s_waitcnt lgkmcnt(0)
	v_pk_add_f16 v21, v99, v149
	v_pk_add_f16 v24, v100, v150
	;; [unrolled: 1-line block ×3, first 2 shown]
	v_pk_add_f16 v23, v99, v149 neg_lo:[0,1] neg_hi:[0,1]
	v_pk_add_f16 v25, v100, v150 neg_lo:[0,1] neg_hi:[0,1]
	v_pk_fma_f16 v21, v21, 0.5, v97 op_sel_hi:[1,0,1] neg_lo:[1,0,0] neg_hi:[1,0,0]
	v_pk_fma_f16 v24, v24, 0.5, v98 op_sel_hi:[1,0,1] neg_lo:[1,0,0] neg_hi:[1,0,0]
	ds_read2_b32 v[97:98], v125 offset0:104 offset1:229
	ds_read2_b32 v[99:100], v147 offset0:74 offset1:199
	v_pk_add_f16 v20, v20, v149
	v_pk_add_f16 v22, v22, v150
	ds_read2_b32 v[149:150], v146 offset0:44 offset1:169
	ds_read2_b32 v[152:153], v135 offset0:68 offset1:193
	v_mov_b32_e32 v146, v108
	s_waitcnt lgkmcnt(2)
	v_pk_add_f16 v26, v97, v99
	v_pk_add_f16 v96, v98, v100
	s_waitcnt lgkmcnt(1)
	v_pk_add_f16 v27, v99, v149
	v_pk_add_f16 v105, v99, v149 neg_lo:[0,1] neg_hi:[0,1]
	v_pk_add_f16 v106, v100, v150
	v_pk_add_f16 v107, v100, v150 neg_lo:[0,1] neg_hi:[0,1]
	v_pk_add_f16 v26, v26, v149
	v_pk_add_f16 v96, v96, v150
	ds_read2_b32 v[149:150], v108 offset0:98 offset1:223
	ds_read2_b32 v[99:100], v144 offset1:125
	s_waitcnt lgkmcnt(0)
	s_barrier
	buffer_gl0_inv
	v_pk_add_f16 v117, v150, v153
	v_pk_add_f16 v147, v149, v152 neg_lo:[0,1] neg_hi:[0,1]
	v_pk_add_f16 v108, v100, v150
	v_pk_add_f16 v122, v149, v152
	;; [unrolled: 1-line block ×3, first 2 shown]
	v_pk_fma_f16 v100, v117, 0.5, v100 op_sel_hi:[1,0,1] neg_lo:[1,0,0] neg_hi:[1,0,0]
	v_pk_mul_f16 v117, 0x3aee, v147 op_sel_hi:[0,1]
	buffer_load_dword v147, off, s[20:23], 0 offset:60 ; 4-byte Folded Reload
	v_pk_fma_f16 v99, v122, 0.5, v99 op_sel_hi:[1,0,1] neg_lo:[1,0,0] neg_hi:[1,0,0]
	v_pk_add_f16 v119, v119, v152
	v_pk_add_f16 v121, v150, v153 neg_lo:[0,1] neg_hi:[0,1]
	v_pk_add_f16 v108, v108, v153
	v_pk_add_f16 v122, v99, v117 op_sel:[0,1] op_sel_hi:[1,0] neg_lo:[0,1] neg_hi:[0,1]
	v_pk_add_f16 v99, v99, v117 op_sel:[0,1] op_sel_hi:[1,0]
	v_bfi_b32 v117, 0xffff, v122, v99
	v_bfi_b32 v99, 0xffff, v99, v122
	s_waitcnt vmcnt(0)
	ds_write2_b32 v147, v119, v117 offset1:1
	buffer_load_dword v119, off, s[20:23], 0 offset:64 ; 4-byte Folded Reload
	ds_write_b32 v147, v99 offset:8
	v_pk_mul_f16 v99, 0x3aee, v121 op_sel_hi:[0,1]
	v_pk_add_f16 v117, v100, v99 op_sel:[0,1] op_sel_hi:[1,0] neg_lo:[0,1] neg_hi:[0,1]
	v_pk_add_f16 v99, v100, v99 op_sel:[0,1] op_sel_hi:[1,0]
	v_bfi_b32 v100, 0xffff, v117, v99
	v_bfi_b32 v99, 0xffff, v99, v117
	s_waitcnt vmcnt(0)
	ds_write2_b32 v119, v108, v100 offset1:1
	buffer_load_dword v100, off, s[20:23], 0 offset:68 ; 4-byte Folded Reload
	ds_write_b32 v119, v99 offset:8
	v_pk_add_f16 v99, v9, v11 op_sel:[0,1] op_sel_hi:[1,0] neg_lo:[0,1] neg_hi:[0,1]
	v_pk_add_f16 v9, v9, v11 op_sel:[0,1] op_sel_hi:[1,0]
	v_bfi_b32 v11, 0xffff, v99, v9
	s_waitcnt vmcnt(0)
	ds_write2_b32 v100, v8, v11 offset1:1
	v_bfi_b32 v8, 0xffff, v9, v99
	ds_write_b32 v100, v8 offset:8
	v_pk_mul_f16 v8, 0x3aee, v13 op_sel_hi:[0,1]
	v_pk_add_f16 v9, v12, v8 op_sel:[0,1] op_sel_hi:[1,0] neg_lo:[0,1] neg_hi:[0,1]
	v_pk_add_f16 v8, v12, v8 op_sel:[0,1] op_sel_hi:[1,0]
	buffer_load_dword v12, off, s[20:23], 0 offset:76 ; 4-byte Folded Reload
	v_bfi_b32 v11, 0xffff, v9, v8
	v_bfi_b32 v8, 0xffff, v8, v9
	s_waitcnt vmcnt(0)
	ds_write2_b32 v12, v10, v11 offset1:1
	buffer_load_dword v11, off, s[20:23], 0 offset:84 ; 4-byte Folded Reload
	ds_write_b32 v12, v8 offset:8
	v_pk_mul_f16 v8, 0x3aee, v17 op_sel_hi:[0,1]
	v_pk_add_f16 v9, v15, v8 op_sel:[0,1] op_sel_hi:[1,0] neg_lo:[0,1] neg_hi:[0,1]
	v_pk_add_f16 v8, v15, v8 op_sel:[0,1] op_sel_hi:[1,0]
	v_bfi_b32 v10, 0xffff, v9, v8
	v_bfi_b32 v8, 0xffff, v8, v9
	s_waitcnt vmcnt(0)
	ds_write2_b32 v11, v14, v10 offset1:1
	ds_write_b32 v11, v8 offset:8
	buffer_load_dword v11, off, s[20:23], 0 offset:80 ; 4-byte Folded Reload
	v_pk_mul_f16 v8, 0x3aee, v19 op_sel_hi:[0,1]
	v_pk_add_f16 v9, v18, v8 op_sel:[0,1] op_sel_hi:[1,0] neg_lo:[0,1] neg_hi:[0,1]
	v_pk_add_f16 v8, v18, v8 op_sel:[0,1] op_sel_hi:[1,0]
	v_bfi_b32 v10, 0xffff, v9, v8
	v_bfi_b32 v8, 0xffff, v8, v9
	s_waitcnt vmcnt(0)
	ds_write2_b32 v11, v16, v10 offset1:1
	ds_write_b32 v11, v8 offset:8
	buffer_load_dword v11, off, s[20:23], 0 offset:88 ; 4-byte Folded Reload
	;; [unrolled: 9-line block ×3, first 2 shown]
	v_pk_mul_f16 v8, 0x3aee, v25 op_sel_hi:[0,1]
	v_pk_add_f16 v9, v24, v8 op_sel:[0,1] op_sel_hi:[1,0] neg_lo:[0,1] neg_hi:[0,1]
	v_pk_add_f16 v8, v24, v8 op_sel:[0,1] op_sel_hi:[1,0]
	v_bfi_b32 v10, 0xffff, v9, v8
	v_bfi_b32 v8, 0xffff, v8, v9
	v_pk_mul_f16 v9, 0x3aee, v105 op_sel_hi:[0,1]
	s_waitcnt vmcnt(0)
	ds_write2_b32 v11, v22, v10 offset1:1
	ds_write_b32 v11, v8 offset:8
	buffer_load_dword v11, off, s[20:23], 0 offset:100 ; 4-byte Folded Reload
	v_pk_fma_f16 v8, v27, 0.5, v97 op_sel_hi:[1,0,1] neg_lo:[1,0,0] neg_hi:[1,0,0]
	v_pk_add_f16 v10, v8, v9 op_sel:[0,1] op_sel_hi:[1,0] neg_lo:[0,1] neg_hi:[0,1]
	v_pk_add_f16 v8, v8, v9 op_sel:[0,1] op_sel_hi:[1,0]
	v_bfi_b32 v9, 0xffff, v10, v8
	v_bfi_b32 v8, 0xffff, v8, v10
	s_waitcnt vmcnt(0)
	ds_write2_b32 v11, v26, v9 offset1:1
	ds_write_b32 v11, v8 offset:8
	buffer_load_dword v11, off, s[20:23], 0 offset:96 ; 4-byte Folded Reload
	v_pk_fma_f16 v8, v106, 0.5, v98 op_sel_hi:[1,0,1] neg_lo:[1,0,0] neg_hi:[1,0,0]
	v_pk_mul_f16 v9, 0x3aee, v107 op_sel_hi:[0,1]
	v_pk_add_f16 v10, v8, v9 op_sel:[0,1] op_sel_hi:[1,0] neg_lo:[0,1] neg_hi:[0,1]
	v_pk_add_f16 v8, v8, v9 op_sel:[0,1] op_sel_hi:[1,0]
	v_bfi_b32 v9, 0xffff, v10, v8
	v_bfi_b32 v8, 0xffff, v8, v10
	s_waitcnt vmcnt(0)
	ds_write2_b32 v11, v96, v9 offset1:1
	ds_write_b32 v11, v8 offset:8
	s_waitcnt lgkmcnt(0)
	s_barrier
	buffer_gl0_inv
	ds_read2_b32 v[97:98], v128 offset0:110 offset1:235
	ds_read2_b32 v[149:150], v123 offset0:74 offset1:199
	;; [unrolled: 1-line block ×7, first 2 shown]
	s_waitcnt lgkmcnt(6)
	v_lshrrev_b32_e32 v8, 16, v97
	v_mul_f16_sdwa v9, v159, v97 dst_sel:DWORD dst_unused:UNUSED_PAD src0_sel:WORD_1 src1_sel:DWORD
	s_waitcnt lgkmcnt(5)
	v_lshrrev_b32_e32 v12, 16, v150
	v_mul_f16_sdwa v13, v218, v150 dst_sel:DWORD dst_unused:UNUSED_PAD src0_sel:WORD_1 src1_sel:DWORD
	;; [unrolled: 3-line block ×3, first 2 shown]
	v_fma_f16 v199, v159, v8, -v9
	v_lshrrev_b32_e32 v8, 16, v99
	v_mul_f16_sdwa v9, v160, v99 dst_sel:DWORD dst_unused:UNUSED_PAD src0_sel:WORD_1 src1_sel:DWORD
	v_mul_f16_sdwa v165, v218, v12 dst_sel:DWORD dst_unused:UNUSED_PAD src0_sel:WORD_1 src1_sel:DWORD
	;; [unrolled: 1-line block ×3, first 2 shown]
	v_fma_f16 v168, v218, v12, -v13
	ds_read2_b32 v[12:13], v125 offset0:104 offset1:229
	v_fma_f16 v201, v160, v8, -v9
	v_mul_f16_sdwa v202, v160, v8 dst_sel:DWORD dst_unused:UNUSED_PAD src0_sel:WORD_1 src1_sel:DWORD
	v_lshrrev_b32_e32 v8, 16, v149
	v_mul_f16_sdwa v9, v161, v149 dst_sel:DWORD dst_unused:UNUSED_PAD src0_sel:WORD_1 src1_sel:DWORD
	v_mul_f16_sdwa v166, v219, v14 dst_sel:DWORD dst_unused:UNUSED_PAD src0_sel:WORD_1 src1_sel:DWORD
	v_fma_f16 v198, v219, v14, -v15
	ds_read2_b32 v[14:15], v210 offset0:86 offset1:211
	v_mul_f16_sdwa v204, v161, v8 dst_sel:DWORD dst_unused:UNUSED_PAD src0_sel:WORD_1 src1_sel:DWORD
	v_fma_f16 v203, v161, v8, -v9
	v_lshrrev_b32_e32 v8, 16, v152
	v_mul_f16_sdwa v9, v162, v152 dst_sel:DWORD dst_unused:UNUSED_PAD src0_sel:WORD_1 src1_sel:DWORD
	v_fmac_f16_e32 v200, v159, v97
	v_fmac_f16_e32 v202, v160, v99
	v_fmac_f16_e32 v204, v161, v149
	v_mul_f16_sdwa v206, v162, v8 dst_sel:DWORD dst_unused:UNUSED_PAD src0_sel:WORD_1 src1_sel:DWORD
	v_fma_f16 v205, v162, v8, -v9
	v_lshrrev_b32_e32 v8, 16, v98
	v_mul_f16_sdwa v9, v216, v98 dst_sel:DWORD dst_unused:UNUSED_PAD src0_sel:WORD_1 src1_sel:DWORD
	v_lshrrev_b32_e32 v10, 16, v100
	v_fmac_f16_e32 v206, v162, v152
	v_mul_f16_sdwa v11, v217, v100 dst_sel:DWORD dst_unused:UNUSED_PAD src0_sel:WORD_1 src1_sel:DWORD
	v_mul_f16_sdwa v162, v216, v8 dst_sel:DWORD dst_unused:UNUSED_PAD src0_sel:WORD_1 src1_sel:DWORD
	v_fma_f16 v167, v216, v8, -v9
	s_waitcnt lgkmcnt(1)
	v_lshrrev_b32_e32 v8, 16, v12
	v_mul_f16_sdwa v9, v36, v12 dst_sel:DWORD dst_unused:UNUSED_PAD src0_sel:WORD_1 src1_sel:DWORD
	v_mul_f16_sdwa v163, v217, v10 dst_sel:DWORD dst_unused:UNUSED_PAD src0_sel:WORD_1 src1_sel:DWORD
	v_fmac_f16_e32 v165, v218, v150
	v_fma_f16 v197, v217, v10, -v11
	v_mul_f16_sdwa v155, v36, v8 dst_sel:DWORD dst_unused:UNUSED_PAD src0_sel:WORD_1 src1_sel:DWORD
	v_fma_f16 v154, v36, v8, -v9
	s_waitcnt lgkmcnt(0)
	v_lshrrev_b32_e32 v8, 16, v14
	v_mul_f16_sdwa v9, v37, v14 dst_sel:DWORD dst_unused:UNUSED_PAD src0_sel:WORD_1 src1_sel:DWORD
	v_lshrrev_b32_e32 v10, 16, v15
	v_fmac_f16_e32 v155, v36, v12
	v_lshrrev_b32_e32 v12, 16, v21
	v_mul_f16_sdwa v157, v37, v8 dst_sel:DWORD dst_unused:UNUSED_PAD src0_sel:WORD_1 src1_sel:DWORD
	v_fma_f16 v156, v37, v8, -v9
	v_lshrrev_b32_e32 v8, 16, v20
	v_mul_f16_sdwa v9, v38, v20 dst_sel:DWORD dst_unused:UNUSED_PAD src0_sel:WORD_1 src1_sel:DWORD
	v_mul_f16_sdwa v99, v34, v12 dst_sel:DWORD dst_unused:UNUSED_PAD src0_sel:WORD_1 src1_sel:DWORD
	v_fmac_f16_e32 v157, v37, v14
	v_lshrrev_b32_e32 v14, 16, v23
	v_mul_f16_sdwa v159, v38, v8 dst_sel:DWORD dst_unused:UNUSED_PAD src0_sel:WORD_1 src1_sel:DWORD
	v_fma_f16 v158, v38, v8, -v9
	v_lshrrev_b32_e32 v8, 16, v22
	v_mul_f16_sdwa v9, v39, v22 dst_sel:DWORD dst_unused:UNUSED_PAD src0_sel:WORD_1 src1_sel:DWORD
	v_fmac_f16_e32 v162, v216, v98
	v_fmac_f16_e32 v163, v217, v100
	v_fmac_f16_e32 v159, v38, v20
	v_mul_f16_sdwa v161, v39, v8 dst_sel:DWORD dst_unused:UNUSED_PAD src0_sel:WORD_1 src1_sel:DWORD
	v_fma_f16 v160, v39, v8, -v9
	v_lshrrev_b32_e32 v8, 16, v13
	v_mul_f16_sdwa v9, v32, v13 dst_sel:DWORD dst_unused:UNUSED_PAD src0_sel:WORD_1 src1_sel:DWORD
	v_mul_f16_sdwa v98, v33, v10 dst_sel:DWORD dst_unused:UNUSED_PAD src0_sel:WORD_1 src1_sel:DWORD
	v_fmac_f16_e32 v99, v34, v21
	v_mul_f16_sdwa v100, v35, v14 dst_sel:DWORD dst_unused:UNUSED_PAD src0_sel:WORD_1 src1_sel:DWORD
	v_mul_f16_sdwa v97, v32, v8 dst_sel:DWORD dst_unused:UNUSED_PAD src0_sel:WORD_1 src1_sel:DWORD
	v_fmac_f16_e32 v161, v39, v22
	v_fmac_f16_e32 v98, v33, v15
	v_mul_f16_sdwa v11, v33, v15 dst_sel:DWORD dst_unused:UNUSED_PAD src0_sel:WORD_1 src1_sel:DWORD
	v_fmac_f16_e32 v100, v35, v23
	v_fmac_f16_e32 v97, v32, v13
	v_mul_f16_sdwa v13, v34, v21 dst_sel:DWORD dst_unused:UNUSED_PAD src0_sel:WORD_1 src1_sel:DWORD
	ds_read2_b32 v[20:21], v139 offset0:80 offset1:205
	v_mul_f16_sdwa v15, v35, v23 dst_sel:DWORD dst_unused:UNUSED_PAD src0_sel:WORD_1 src1_sel:DWORD
	ds_read2_b32 v[22:23], v127 offset0:62 offset1:187
	v_fma_f16 v149, v32, v8, -v9
	v_fma_f16 v150, v34, v12, -v13
	ds_read2_b32 v[12:13], v146 offset0:98 offset1:223
	v_fma_f16 v152, v33, v10, -v11
	v_fmac_f16_e32 v166, v219, v153
	v_fma_f16 v153, v35, v14, -v15
	v_lshrrev_b32_e32 v16, 16, v208
	v_mul_f16_sdwa v17, v104, v208 dst_sel:DWORD dst_unused:UNUSED_PAD src0_sel:WORD_1 src1_sel:DWORD
	v_add_f16_e32 v19, v201, v203
	v_sub_f16_e32 v18, v201, v203
	v_sub_f16_e32 v96, v202, v204
	v_fma_f16 v25, v104, v16, -v17
	s_waitcnt lgkmcnt(2)
	v_lshrrev_b32_e32 v10, 16, v21
	v_mul_f16_sdwa v11, v102, v21 dst_sel:DWORD dst_unused:UNUSED_PAD src0_sel:WORD_1 src1_sel:DWORD
	s_waitcnt lgkmcnt(0)
	v_lshrrev_b32_e32 v8, 16, v12
	v_mul_f16_sdwa v9, v28, v12 dst_sel:DWORD dst_unused:UNUSED_PAD src0_sel:WORD_1 src1_sel:DWORD
	v_mul_f16_sdwa v15, v102, v10 dst_sel:DWORD dst_unused:UNUSED_PAD src0_sel:WORD_1 src1_sel:DWORD
	v_fma_f16 v24, v102, v10, -v11
	v_mul_f16_sdwa v33, v28, v8 dst_sel:DWORD dst_unused:UNUSED_PAD src0_sel:WORD_1 src1_sel:DWORD
	v_fma_f16 v32, v28, v8, -v9
	v_lshrrev_b32_e32 v8, 16, v20
	v_mul_f16_sdwa v9, v29, v20 dst_sel:DWORD dst_unused:UNUSED_PAD src0_sel:WORD_1 src1_sel:DWORD
	v_fmac_f16_e32 v15, v102, v21
	v_fmac_f16_e32 v33, v28, v12
	v_lshrrev_b32_e32 v12, 16, v23
	v_mul_f16_sdwa v35, v29, v8 dst_sel:DWORD dst_unused:UNUSED_PAD src0_sel:WORD_1 src1_sel:DWORD
	v_fma_f16 v34, v29, v8, -v9
	v_lshrrev_b32_e32 v8, 16, v22
	v_mul_f16_sdwa v9, v30, v22 dst_sel:DWORD dst_unused:UNUSED_PAD src0_sel:WORD_1 src1_sel:DWORD
	v_mul_f16_sdwa v21, v104, v16 dst_sel:DWORD dst_unused:UNUSED_PAD src0_sel:WORD_1 src1_sel:DWORD
	v_fmac_f16_e32 v35, v29, v20
	v_mul_f16_sdwa v20, v103, v12 dst_sel:DWORD dst_unused:UNUSED_PAD src0_sel:WORD_1 src1_sel:DWORD
	v_mul_f16_sdwa v37, v30, v8 dst_sel:DWORD dst_unused:UNUSED_PAD src0_sel:WORD_1 src1_sel:DWORD
	v_fma_f16 v36, v30, v8, -v9
	v_lshrrev_b32_e32 v8, 16, v207
	v_mul_f16_sdwa v9, v31, v207 dst_sel:DWORD dst_unused:UNUSED_PAD src0_sel:WORD_1 src1_sel:DWORD
	v_fmac_f16_e32 v20, v103, v23
	v_fmac_f16_e32 v37, v30, v22
	v_sub_f16_e32 v16, v199, v205
	v_mul_f16_sdwa v39, v31, v8 dst_sel:DWORD dst_unused:UNUSED_PAD src0_sel:WORD_1 src1_sel:DWORD
	v_fma_f16 v38, v31, v8, -v9
	v_lshrrev_b32_e32 v8, 16, v13
	v_mul_f16_sdwa v9, v101, v13 dst_sel:DWORD dst_unused:UNUSED_PAD src0_sel:WORD_1 src1_sel:DWORD
	v_fmac_f16_e32 v21, v104, v208
	v_fmac_f16_e32 v39, v31, v207
	v_sub_f16_e32 v31, v200, v206
	v_mul_f16_sdwa v14, v101, v8 dst_sel:DWORD dst_unused:UNUSED_PAD src0_sel:WORD_1 src1_sel:DWORD
	v_fma_f16 v22, v101, v8, -v9
	v_sub_f16_e32 v8, v200, v202
	v_sub_f16_e32 v9, v206, v204
	;; [unrolled: 1-line block ×3, first 2 shown]
	v_fmac_f16_e32 v14, v101, v13
	v_mul_f16_sdwa v13, v103, v23 dst_sel:DWORD dst_unused:UNUSED_PAD src0_sel:WORD_1 src1_sel:DWORD
	v_add_f16_e32 v101, v200, v206
	v_add_f16_e32 v26, v8, v9
	v_sub_f16_e32 v8, v199, v201
	v_sub_f16_e32 v9, v205, v203
	v_fma_f16 v23, v103, v12, -v13
	ds_read2_b32 v[12:13], v144 offset1:125
	v_add_f16_e32 v8, v8, v9
	s_waitcnt lgkmcnt(0)
	v_lshrrev_b32_e32 v10, 16, v12
	v_add_f16_e32 v9, v12, v200
	v_add_f16_e32 v11, v10, v199
	v_add_f16_e32 v9, v9, v202
	v_fma_f16 v19, -0.5, v19, v10
	v_add_f16_e32 v11, v11, v201
	v_add_f16_e32 v9, v9, v204
	v_fmamk_f16 v27, v31, 0x3b9c, v19
	v_fmac_f16_e32 v19, 0xbb9c, v31
	v_add_f16_e32 v11, v11, v203
	v_add_f16_e32 v9, v9, v206
	v_fmac_f16_e32 v27, 0x38b4, v96
	v_fmac_f16_e32 v19, 0xb8b4, v96
	v_add_f16_e32 v11, v11, v205
	v_fmac_f16_e32 v27, 0x34f2, v8
	v_fmac_f16_e32 v19, 0x34f2, v8
	v_pack_b32_f16 v9, v9, v11
	v_add_f16_e32 v11, v202, v204
	v_fma_f16 v11, -0.5, v11, v12
	v_fma_f16 v12, -0.5, v101, v12
	v_fmamk_f16 v17, v16, 0xbb9c, v11
	v_fmamk_f16 v101, v18, 0x3b9c, v12
	v_fmac_f16_e32 v12, 0xbb9c, v18
	v_fmac_f16_e32 v11, 0x3b9c, v16
	;; [unrolled: 1-line block ×6, first 2 shown]
	v_sub_f16_e32 v16, v167, v198
	v_fmac_f16_e32 v17, 0x34f2, v26
	v_sub_f16_e32 v18, v197, v168
	v_fmac_f16_e32 v11, 0x34f2, v26
	v_sub_f16_e32 v26, v162, v166
	v_pack_b32_f16 v17, v17, v27
	ds_read2_b32 v[27:28], v137 offset0:122 offset1:247
	ds_read2_b32 v[29:30], v124 offset0:116 offset1:241
	s_waitcnt lgkmcnt(0)
	s_barrier
	buffer_gl0_inv
	s_clause 0x1
	buffer_load_dword v103, off, s[20:23], 0 offset:104
	buffer_load_dword v104, off, s[20:23], 0 offset:112
	v_pack_b32_f16 v8, v11, v19
	v_lshrrev_b32_e32 v11, 16, v13
	v_add_f16_e32 v19, v197, v168
	v_fma_f16 v19, -0.5, v19, v11
	s_waitcnt vmcnt(1)
	ds_write2_b32 v103, v9, v17 offset1:3
	v_sub_f16_e32 v9, v202, v200
	v_sub_f16_e32 v17, v204, v206
	ds_write_b32 v103, v8 offset:48
	v_sub_f16_e32 v8, v162, v163
	v_add_f16_e32 v9, v9, v17
	v_add_f16_e32 v17, v199, v205
	v_fmac_f16_e32 v101, 0x34f2, v9
	v_fmac_f16_e32 v10, -0.5, v17
	v_sub_f16_e32 v17, v201, v199
	v_fmac_f16_e32 v12, 0x34f2, v9
	v_add_f16_e32 v9, v17, v102
	v_fmamk_f16 v17, v96, 0xbb9c, v10
	v_fmac_f16_e32 v10, 0x3b9c, v96
	v_sub_f16_e32 v96, v163, v165
	v_add_f16_e32 v102, v167, v198
	v_fmac_f16_e32 v17, 0x38b4, v31
	v_fmac_f16_e32 v10, 0xb8b4, v31
	v_fmamk_f16 v31, v26, 0x3b9c, v19
	v_fmac_f16_e32 v19, 0xbb9c, v26
	v_fmac_f16_e32 v17, 0x34f2, v9
	;; [unrolled: 1-line block ×5, first 2 shown]
	v_pack_b32_f16 v9, v101, v17
	v_pack_b32_f16 v10, v12, v10
	v_add_f16_e32 v12, v11, v167
	v_sub_f16_e32 v101, v197, v167
	v_fmac_f16_e32 v11, -0.5, v102
	ds_write2_b32 v103, v9, v10 offset0:6 offset1:9
	v_sub_f16_e32 v9, v166, v165
	v_sub_f16_e32 v10, v198, v168
	v_add_f16_e32 v12, v12, v197
	v_sub_f16_e32 v103, v168, v198
	v_add_f16_e32 v8, v8, v9
	;; [unrolled: 2-line block ×3, first 2 shown]
	v_add_f16_e32 v9, v9, v10
	v_add_f16_e32 v10, v13, v162
	;; [unrolled: 1-line block ×3, first 2 shown]
	v_fmac_f16_e32 v31, 0x34f2, v9
	v_add_f16_e32 v10, v10, v163
	v_fmac_f16_e32 v19, 0x34f2, v9
	v_sub_f16_e32 v9, v161, v159
	v_add_f16_e32 v10, v10, v165
	v_add_f16_e32 v10, v10, v166
	v_pack_b32_f16 v10, v10, v12
	v_add_f16_e32 v12, v163, v165
	v_fma_f16 v12, -0.5, v12, v13
	v_fmamk_f16 v17, v16, 0xbb9c, v12
	v_fmac_f16_e32 v12, 0x3b9c, v16
	v_fmac_f16_e32 v17, 0xb8b4, v18
	;; [unrolled: 1-line block ×5, first 2 shown]
	v_pack_b32_f16 v17, v17, v31
	v_sub_f16_e32 v31, v165, v166
	v_pack_b32_f16 v8, v12, v19
	v_sub_f16_e32 v19, v155, v161
	s_waitcnt vmcnt(0)
	ds_write2_b32 v104, v10, v17 offset1:3
	v_add_f16_e32 v17, v162, v166
	v_sub_f16_e32 v10, v163, v162
	ds_write_b32 v104, v8 offset:48
	v_sub_f16_e32 v8, v155, v157
	v_fmac_f16_e32 v13, -0.5, v17
	v_add_f16_e32 v10, v10, v31
	v_add_f16_e32 v17, v101, v103
	v_fmamk_f16 v101, v96, 0xbb9c, v11
	v_fmac_f16_e32 v11, 0x3b9c, v96
	v_fmamk_f16 v31, v18, 0x3b9c, v13
	v_fmac_f16_e32 v13, 0xbb9c, v18
	v_add_f16_e32 v8, v8, v9
	v_fmac_f16_e32 v101, 0x38b4, v26
	v_fmac_f16_e32 v11, 0xb8b4, v26
	;; [unrolled: 1-line block ×4, first 2 shown]
	v_sub_f16_e32 v9, v154, v156
	v_fmac_f16_e32 v101, 0x34f2, v17
	v_fmac_f16_e32 v11, 0x34f2, v17
	;; [unrolled: 1-line block ×4, first 2 shown]
	v_add_f16_e32 v18, v156, v158
	v_sub_f16_e32 v17, v156, v158
	v_sub_f16_e32 v96, v158, v160
	v_pack_b32_f16 v10, v31, v101
	v_pack_b32_f16 v11, v13, v11
	v_sub_f16_e32 v13, v154, v160
	v_sub_f16_e32 v31, v157, v159
	ds_write2_b32 v104, v10, v11 offset0:6 offset1:9
	v_sub_f16_e32 v10, v160, v158
	v_lshrrev_b32_e32 v11, 16, v27
	v_add_f16_e32 v9, v9, v10
	v_add_f16_e32 v10, v27, v155
	;; [unrolled: 1-line block ×3, first 2 shown]
	v_fma_f16 v18, -0.5, v18, v11
	v_add_f16_e32 v10, v10, v157
	v_add_f16_e32 v12, v12, v156
	v_fmamk_f16 v26, v19, 0x3b9c, v18
	v_fmac_f16_e32 v18, 0xbb9c, v19
	v_add_f16_e32 v10, v10, v159
	v_add_f16_e32 v12, v12, v158
	v_fmac_f16_e32 v26, 0x38b4, v31
	v_fmac_f16_e32 v18, 0xb8b4, v31
	v_add_f16_e32 v10, v10, v161
	v_add_f16_e32 v12, v12, v160
	v_fmac_f16_e32 v26, 0x34f2, v9
	v_fmac_f16_e32 v18, 0x34f2, v9
	v_sub_f16_e32 v9, v100, v99
	v_pack_b32_f16 v10, v10, v12
	v_add_f16_e32 v12, v157, v159
	v_fma_f16 v12, -0.5, v12, v27
	v_fmamk_f16 v16, v13, 0xbb9c, v12
	v_fmac_f16_e32 v12, 0x3b9c, v13
	v_fmac_f16_e32 v16, 0xb8b4, v17
	v_fmac_f16_e32 v12, 0x38b4, v17
	v_fmac_f16_e32 v16, 0x34f2, v8
	v_fmac_f16_e32 v12, 0x34f2, v8
	v_pack_b32_f16 v16, v16, v26
	v_add_f16_e32 v26, v155, v161
	v_pack_b32_f16 v8, v12, v18
	v_add_f16_e32 v18, v152, v150
	ds_write2_b32 v170, v10, v16 offset1:3
	v_sub_f16_e32 v10, v157, v155
	v_sub_f16_e32 v16, v159, v161
	v_fma_f16 v26, -0.5, v26, v27
	ds_write_b32 v170, v8 offset:48
	v_sub_f16_e32 v8, v97, v98
	v_add_f16_e32 v10, v10, v16
	v_add_f16_e32 v16, v154, v160
	v_fmamk_f16 v27, v17, 0x3b9c, v26
	v_fmac_f16_e32 v26, 0xbb9c, v17
	v_add_f16_e32 v8, v8, v9
	v_sub_f16_e32 v9, v149, v152
	v_fmac_f16_e32 v11, -0.5, v16
	v_sub_f16_e32 v16, v156, v154
	v_fmac_f16_e32 v27, 0xb8b4, v13
	v_fmac_f16_e32 v26, 0x38b4, v13
	v_sub_f16_e32 v13, v149, v153
	v_sub_f16_e32 v17, v152, v150
	v_fmac_f16_e32 v27, 0x34f2, v10
	v_fmac_f16_e32 v26, 0x34f2, v10
	v_add_f16_e32 v10, v16, v96
	v_fmamk_f16 v16, v31, 0xbb9c, v11
	v_fmac_f16_e32 v11, 0x3b9c, v31
	v_add_f16_e32 v96, v149, v153
	v_sub_f16_e32 v31, v152, v149
	v_fmac_f16_e32 v16, 0x38b4, v19
	v_fmac_f16_e32 v11, 0xb8b4, v19
	v_sub_f16_e32 v19, v97, v100
	v_fmac_f16_e32 v16, 0x34f2, v10
	v_fmac_f16_e32 v11, 0x34f2, v10
	v_pack_b32_f16 v10, v27, v16
	v_pack_b32_f16 v11, v26, v11
	v_sub_f16_e32 v27, v98, v99
	ds_write2_b32 v170, v10, v11 offset0:6 offset1:9
	v_sub_f16_e32 v10, v153, v150
	v_lshrrev_b32_e32 v11, 16, v28
	v_add_f16_e32 v9, v9, v10
	v_add_f16_e32 v10, v28, v97
	;; [unrolled: 1-line block ×3, first 2 shown]
	v_fma_f16 v18, -0.5, v18, v11
	v_fmac_f16_e32 v11, -0.5, v96
	v_add_f16_e32 v10, v10, v98
	v_add_f16_e32 v12, v12, v152
	v_fmamk_f16 v26, v19, 0x3b9c, v18
	v_fmac_f16_e32 v18, 0xbb9c, v19
	v_add_f16_e32 v10, v10, v99
	v_add_f16_e32 v12, v12, v150
	v_fmac_f16_e32 v26, 0x38b4, v27
	v_fmac_f16_e32 v18, 0xb8b4, v27
	v_add_f16_e32 v10, v10, v100
	v_add_f16_e32 v12, v12, v153
	v_fmac_f16_e32 v26, 0x34f2, v9
	v_fmac_f16_e32 v18, 0x34f2, v9
	v_sub_f16_e32 v9, v39, v37
	v_pack_b32_f16 v10, v10, v12
	v_add_f16_e32 v12, v98, v99
	v_fma_f16 v12, -0.5, v12, v28
	v_fmamk_f16 v16, v13, 0xbb9c, v12
	v_fmac_f16_e32 v12, 0x3b9c, v13
	v_fmac_f16_e32 v16, 0xb8b4, v17
	;; [unrolled: 1-line block ×5, first 2 shown]
	v_pack_b32_f16 v16, v16, v26
	v_sub_f16_e32 v26, v99, v100
	v_pack_b32_f16 v8, v12, v18
	v_add_f16_e32 v18, v34, v36
	ds_write2_b32 v171, v10, v16 offset1:3
	v_add_f16_e32 v16, v97, v100
	v_sub_f16_e32 v10, v98, v97
	v_sub_f16_e32 v97, v150, v153
	ds_write_b32 v171, v8 offset:48
	v_sub_f16_e32 v8, v33, v35
	v_fmac_f16_e32 v28, -0.5, v16
	v_add_f16_e32 v10, v10, v26
	v_add_f16_e32 v16, v31, v97
	v_fmamk_f16 v31, v27, 0xbb9c, v11
	v_fmac_f16_e32 v11, 0x3b9c, v27
	v_fmamk_f16 v26, v17, 0x3b9c, v28
	v_fmac_f16_e32 v28, 0xbb9c, v17
	v_add_f16_e32 v8, v8, v9
	v_fmac_f16_e32 v31, 0x38b4, v19
	v_fmac_f16_e32 v11, 0xb8b4, v19
	;; [unrolled: 1-line block ×4, first 2 shown]
	v_sub_f16_e32 v9, v32, v34
	v_fmac_f16_e32 v31, 0x34f2, v16
	v_fmac_f16_e32 v11, 0x34f2, v16
	;; [unrolled: 1-line block ×4, first 2 shown]
	v_sub_f16_e32 v13, v32, v38
	v_sub_f16_e32 v19, v33, v39
	;; [unrolled: 1-line block ×3, first 2 shown]
	v_pack_b32_f16 v10, v26, v31
	v_pack_b32_f16 v11, v28, v11
	v_sub_f16_e32 v27, v35, v37
	v_sub_f16_e32 v28, v36, v38
	ds_write2_b32 v171, v10, v11 offset0:6 offset1:9
	v_sub_f16_e32 v10, v38, v36
	v_lshrrev_b32_e32 v11, 16, v29
	v_add_f16_e32 v9, v9, v10
	v_add_f16_e32 v10, v29, v33
	;; [unrolled: 1-line block ×3, first 2 shown]
	v_fma_f16 v18, -0.5, v18, v11
	v_add_f16_e32 v10, v10, v35
	v_add_f16_e32 v12, v12, v34
	v_fmamk_f16 v26, v19, 0x3b9c, v18
	v_fmac_f16_e32 v18, 0xbb9c, v19
	v_add_f16_e32 v10, v10, v37
	v_add_f16_e32 v12, v12, v36
	v_fmac_f16_e32 v26, 0x38b4, v27
	v_fmac_f16_e32 v18, 0xb8b4, v27
	v_add_f16_e32 v10, v10, v39
	v_add_f16_e32 v12, v12, v38
	v_fmac_f16_e32 v26, 0x34f2, v9
	v_fmac_f16_e32 v18, 0x34f2, v9
	v_sub_f16_e32 v9, v21, v20
	v_pack_b32_f16 v10, v10, v12
	v_add_f16_e32 v12, v35, v37
	v_fma_f16 v12, -0.5, v12, v29
	v_fmamk_f16 v16, v13, 0xbb9c, v12
	v_fmac_f16_e32 v12, 0x3b9c, v13
	v_fmac_f16_e32 v16, 0xb8b4, v17
	v_fmac_f16_e32 v12, 0x38b4, v17
	v_fmac_f16_e32 v16, 0x34f2, v8
	v_fmac_f16_e32 v12, 0x34f2, v8
	v_pack_b32_f16 v16, v16, v26
	v_add_f16_e32 v26, v33, v39
	v_pack_b32_f16 v8, v12, v18
	v_add_f16_e32 v18, v24, v23
	ds_write2_b32 v172, v10, v16 offset1:3
	v_sub_f16_e32 v10, v35, v33
	v_sub_f16_e32 v16, v37, v39
	v_fma_f16 v26, -0.5, v26, v29
	ds_write_b32 v172, v8 offset:48
	v_sub_f16_e32 v8, v14, v15
	v_add_f16_e32 v10, v10, v16
	v_add_f16_e32 v16, v32, v38
	v_fmamk_f16 v29, v17, 0x3b9c, v26
	v_fmac_f16_e32 v26, 0xbb9c, v17
	v_add_f16_e32 v8, v8, v9
	v_sub_f16_e32 v9, v22, v24
	v_fmac_f16_e32 v11, -0.5, v16
	v_sub_f16_e32 v16, v34, v32
	v_fmac_f16_e32 v29, 0xb8b4, v13
	v_fmac_f16_e32 v26, 0x38b4, v13
	v_sub_f16_e32 v13, v22, v25
	v_sub_f16_e32 v17, v24, v23
	v_fmac_f16_e32 v29, 0x34f2, v10
	v_fmac_f16_e32 v26, 0x34f2, v10
	v_add_f16_e32 v10, v16, v28
	v_fmamk_f16 v16, v27, 0xbb9c, v11
	v_fmac_f16_e32 v11, 0x3b9c, v27
	v_sub_f16_e32 v27, v15, v20
	v_fmac_f16_e32 v16, 0x38b4, v19
	v_fmac_f16_e32 v11, 0xb8b4, v19
	v_sub_f16_e32 v19, v14, v21
	v_fmac_f16_e32 v16, 0x34f2, v10
	v_fmac_f16_e32 v11, 0x34f2, v10
	v_pack_b32_f16 v10, v29, v16
	v_pack_b32_f16 v11, v26, v11
	ds_write2_b32 v172, v10, v11 offset0:6 offset1:9
	v_sub_f16_e32 v10, v25, v23
	v_lshrrev_b32_e32 v11, 16, v30
	v_add_f16_e32 v9, v9, v10
	v_add_f16_e32 v10, v30, v14
	;; [unrolled: 1-line block ×3, first 2 shown]
	v_fma_f16 v18, -0.5, v18, v11
	v_add_f16_e32 v10, v10, v15
	v_add_f16_e32 v12, v12, v24
	v_fmamk_f16 v26, v19, 0x3b9c, v18
	v_fmac_f16_e32 v18, 0xbb9c, v19
	v_add_f16_e32 v10, v10, v20
	v_add_f16_e32 v12, v12, v23
	v_fmac_f16_e32 v26, 0x38b4, v27
	v_fmac_f16_e32 v18, 0xb8b4, v27
	v_add_f16_e32 v10, v10, v21
	v_add_f16_e32 v12, v12, v25
	v_fmac_f16_e32 v26, 0x34f2, v9
	v_fmac_f16_e32 v18, 0x34f2, v9
	v_pack_b32_f16 v10, v10, v12
	v_add_f16_e32 v12, v15, v20
	v_fma_f16 v12, -0.5, v12, v30
	v_fmamk_f16 v16, v13, 0xbb9c, v12
	v_fmac_f16_e32 v12, 0x3b9c, v13
	v_fmac_f16_e32 v16, 0xb8b4, v17
	;; [unrolled: 1-line block ×5, first 2 shown]
	v_pack_b32_f16 v16, v16, v26
	v_pack_b32_f16 v8, v12, v18
	ds_write2_b32 v175, v10, v16 offset1:3
	v_sub_f16_e32 v10, v15, v14
	v_add_f16_e32 v14, v14, v21
	v_sub_f16_e32 v15, v20, v21
	v_add_f16_e32 v20, v22, v25
	v_sub_f16_e32 v16, v24, v22
	v_sub_f16_e32 v21, v23, v25
	v_fmac_f16_e32 v30, -0.5, v14
	v_add_f16_e32 v10, v10, v15
	v_fmac_f16_e32 v11, -0.5, v20
	ds_write_b32 v175, v8 offset:48
	v_add_f16_e32 v14, v16, v21
	v_fmamk_f16 v15, v17, 0x3b9c, v30
	v_fmac_f16_e32 v30, 0xbb9c, v17
	v_fmamk_f16 v16, v27, 0xbb9c, v11
	v_fmac_f16_e32 v11, 0x3b9c, v27
	v_fmac_f16_e32 v15, 0xb8b4, v13
	;; [unrolled: 1-line block ×9, first 2 shown]
	v_pack_b32_f16 v10, v15, v16
	v_pack_b32_f16 v11, v30, v11
	ds_write2_b32 v175, v10, v11 offset0:6 offset1:9
	s_waitcnt lgkmcnt(0)
	s_barrier
	buffer_gl0_inv
	ds_read2_b32 v[12:13], v128 offset0:110 offset1:235
	ds_read2_b32 v[14:15], v211 offset0:92 offset1:217
	;; [unrolled: 1-line block ×5, first 2 shown]
	s_waitcnt lgkmcnt(4)
	v_lshrrev_b32_e32 v8, 16, v12
	v_mul_f16_sdwa v9, v52, v12 dst_sel:DWORD dst_unused:UNUSED_PAD src0_sel:WORD_1 src1_sel:DWORD
	s_waitcnt lgkmcnt(3)
	v_lshrrev_b32_e32 v10, 16, v15
	v_mul_f16_sdwa v11, v45, v15 dst_sel:DWORD dst_unused:UNUSED_PAD src0_sel:WORD_1 src1_sel:DWORD
	;; [unrolled: 3-line block ×3, first 2 shown]
	v_fma_f16 v156, v52, v8, -v9
	v_lshrrev_b32_e32 v8, 16, v14
	v_mul_f16_sdwa v9, v53, v14 dst_sel:DWORD dst_unused:UNUSED_PAD src0_sel:WORD_1 src1_sel:DWORD
	v_mul_f16_sdwa v100, v45, v10 dst_sel:DWORD dst_unused:UNUSED_PAD src0_sel:WORD_1 src1_sel:DWORD
	v_fmac_f16_e32 v157, v52, v12
	v_lshrrev_b32_e32 v12, 16, v21
	v_mul_f16_sdwa v159, v53, v8 dst_sel:DWORD dst_unused:UNUSED_PAD src0_sel:WORD_1 src1_sel:DWORD
	v_fma_f16 v158, v53, v8, -v9
	v_lshrrev_b32_e32 v8, 16, v20
	v_mul_f16_sdwa v9, v54, v20 dst_sel:DWORD dst_unused:UNUSED_PAD src0_sel:WORD_1 src1_sel:DWORD
	v_fmac_f16_e32 v100, v45, v15
	v_fmac_f16_e32 v159, v53, v14
	v_mul_f16_sdwa v149, v46, v12 dst_sel:DWORD dst_unused:UNUSED_PAD src0_sel:WORD_1 src1_sel:DWORD
	v_mul_f16_sdwa v161, v54, v8 dst_sel:DWORD dst_unused:UNUSED_PAD src0_sel:WORD_1 src1_sel:DWORD
	v_fma_f16 v160, v54, v8, -v9
	v_lshrrev_b32_e32 v8, 16, v22
	v_mul_f16_sdwa v9, v55, v22 dst_sel:DWORD dst_unused:UNUSED_PAD src0_sel:WORD_1 src1_sel:DWORD
	v_lshrrev_b32_e32 v14, 16, v23
	v_mul_f16_sdwa v15, v47, v23 dst_sel:DWORD dst_unused:UNUSED_PAD src0_sel:WORD_1 src1_sel:DWORD
	v_fmac_f16_e32 v161, v54, v20
	v_mul_f16_sdwa v163, v55, v8 dst_sel:DWORD dst_unused:UNUSED_PAD src0_sel:WORD_1 src1_sel:DWORD
	v_fma_f16 v162, v55, v8, -v9
	v_lshrrev_b32_e32 v8, 16, v13
	v_mul_f16_sdwa v9, v44, v13 dst_sel:DWORD dst_unused:UNUSED_PAD src0_sel:WORD_1 src1_sel:DWORD
	v_mul_f16_sdwa v150, v47, v14 dst_sel:DWORD dst_unused:UNUSED_PAD src0_sel:WORD_1 src1_sel:DWORD
	v_fma_f16 v155, v47, v14, -v15
	ds_read2_b32 v[14:15], v210 offset0:86 offset1:211
	v_mul_f16_sdwa v99, v44, v8 dst_sel:DWORD dst_unused:UNUSED_PAD src0_sel:WORD_1 src1_sel:DWORD
	v_fmac_f16_e32 v149, v46, v21
	v_fmac_f16_e32 v163, v55, v22
	;; [unrolled: 1-line block ×3, first 2 shown]
	ds_read2_b32 v[22:23], v193 offset0:50 offset1:175
	v_fmac_f16_e32 v99, v44, v13
	v_mul_f16_sdwa v13, v46, v21 dst_sel:DWORD dst_unused:UNUSED_PAD src0_sel:WORD_1 src1_sel:DWORD
	ds_read2_b32 v[20:21], v135 offset0:68 offset1:193
	v_fma_f16 v152, v44, v8, -v9
	v_fma_f16 v154, v45, v10, -v11
	v_mul_f16_sdwa v17, v43, v25 dst_sel:DWORD dst_unused:UNUSED_PAD src0_sel:WORD_1 src1_sel:DWORD
	v_fma_f16 v153, v46, v12, -v13
	ds_read2_b32 v[12:13], v125 offset0:104 offset1:229
	v_add_f16_e32 v19, v158, v160
	v_sub_f16_e32 v18, v158, v160
	s_waitcnt lgkmcnt(3)
	v_lshrrev_b32_e32 v10, 16, v15
	v_mul_f16_sdwa v11, v57, v15 dst_sel:DWORD dst_unused:UNUSED_PAD src0_sel:WORD_1 src1_sel:DWORD
	v_mul_f16_sdwa v35, v57, v10 dst_sel:DWORD dst_unused:UNUSED_PAD src0_sel:WORD_1 src1_sel:DWORD
	v_fma_f16 v44, v57, v10, -v11
	v_fmac_f16_e32 v35, v57, v15
	s_waitcnt lgkmcnt(2)
	v_mul_f16_sdwa v15, v59, v23 dst_sel:DWORD dst_unused:UNUSED_PAD src0_sel:WORD_1 src1_sel:DWORD
	v_sub_f16_e32 v57, v153, v155
	s_waitcnt lgkmcnt(0)
	v_lshrrev_b32_e32 v8, 16, v12
	v_mul_f16_sdwa v9, v60, v12 dst_sel:DWORD dst_unused:UNUSED_PAD src0_sel:WORD_1 src1_sel:DWORD
	v_mul_f16_sdwa v47, v60, v8 dst_sel:DWORD dst_unused:UNUSED_PAD src0_sel:WORD_1 src1_sel:DWORD
	v_fma_f16 v46, v60, v8, -v9
	v_lshrrev_b32_e32 v8, 16, v14
	v_mul_f16_sdwa v9, v61, v14 dst_sel:DWORD dst_unused:UNUSED_PAD src0_sel:WORD_1 src1_sel:DWORD
	v_fmac_f16_e32 v47, v60, v12
	v_lshrrev_b32_e32 v12, 16, v21
	v_mul_f16_sdwa v53, v61, v8 dst_sel:DWORD dst_unused:UNUSED_PAD src0_sel:WORD_1 src1_sel:DWORD
	v_fma_f16 v52, v61, v8, -v9
	v_lshrrev_b32_e32 v8, 16, v20
	v_mul_f16_sdwa v9, v62, v20 dst_sel:DWORD dst_unused:UNUSED_PAD src0_sel:WORD_1 src1_sel:DWORD
	v_mul_f16_sdwa v36, v58, v12 dst_sel:DWORD dst_unused:UNUSED_PAD src0_sel:WORD_1 src1_sel:DWORD
	v_fmac_f16_e32 v53, v61, v14
	v_lshrrev_b32_e32 v14, 16, v23
	v_mul_f16_sdwa v55, v62, v8 dst_sel:DWORD dst_unused:UNUSED_PAD src0_sel:WORD_1 src1_sel:DWORD
	v_fma_f16 v54, v62, v8, -v9
	v_lshrrev_b32_e32 v8, 16, v22
	v_mul_f16_sdwa v9, v63, v22 dst_sel:DWORD dst_unused:UNUSED_PAD src0_sel:WORD_1 src1_sel:DWORD
	v_fmac_f16_e32 v36, v58, v21
	v_fmac_f16_e32 v55, v62, v20
	v_mul_f16_sdwa v37, v59, v14 dst_sel:DWORD dst_unused:UNUSED_PAD src0_sel:WORD_1 src1_sel:DWORD
	v_mul_f16_sdwa v98, v63, v8 dst_sel:DWORD dst_unused:UNUSED_PAD src0_sel:WORD_1 src1_sel:DWORD
	v_fma_f16 v97, v63, v8, -v9
	v_lshrrev_b32_e32 v8, 16, v13
	v_mul_f16_sdwa v9, v56, v13 dst_sel:DWORD dst_unused:UNUSED_PAD src0_sel:WORD_1 src1_sel:DWORD
	v_fmac_f16_e32 v37, v59, v23
	v_fmac_f16_e32 v98, v63, v22
	ds_read2_b32 v[22:23], v127 offset0:62 offset1:187
	v_mul_f16_sdwa v34, v56, v8 dst_sel:DWORD dst_unused:UNUSED_PAD src0_sel:WORD_1 src1_sel:DWORD
	v_fma_f16 v38, v56, v8, -v9
	v_fma_f16 v45, v59, v14, -v15
	v_fmac_f16_e32 v34, v56, v13
	v_mul_f16_sdwa v13, v58, v21 dst_sel:DWORD dst_unused:UNUSED_PAD src0_sel:WORD_1 src1_sel:DWORD
	ds_read2_b32 v[20:21], v139 offset0:80 offset1:205
	v_sub_f16_e32 v56, v160, v162
	v_fma_f16 v39, v58, v12, -v13
	ds_read2_b32 v[12:13], v146 offset0:98 offset1:223
	s_waitcnt lgkmcnt(1)
	v_lshrrev_b32_e32 v10, 16, v21
	v_mul_f16_sdwa v11, v41, v21 dst_sel:DWORD dst_unused:UNUSED_PAD src0_sel:WORD_1 src1_sel:DWORD
	s_waitcnt lgkmcnt(0)
	v_lshrrev_b32_e32 v8, 16, v12
	v_mul_f16_sdwa v9, v48, v12 dst_sel:DWORD dst_unused:UNUSED_PAD src0_sel:WORD_1 src1_sel:DWORD
	v_mul_f16_sdwa v15, v41, v10 dst_sel:DWORD dst_unused:UNUSED_PAD src0_sel:WORD_1 src1_sel:DWORD
	;; [unrolled: 1-line block ×3, first 2 shown]
	v_fma_f16 v26, v48, v8, -v9
	v_lshrrev_b32_e32 v8, 16, v20
	v_mul_f16_sdwa v9, v49, v20 dst_sel:DWORD dst_unused:UNUSED_PAD src0_sel:WORD_1 src1_sel:DWORD
	v_fmac_f16_e32 v15, v41, v21
	v_fmac_f16_e32 v27, v48, v12
	v_lshrrev_b32_e32 v12, 16, v23
	v_mul_f16_sdwa v29, v49, v8 dst_sel:DWORD dst_unused:UNUSED_PAD src0_sel:WORD_1 src1_sel:DWORD
	v_fma_f16 v28, v49, v8, -v9
	v_lshrrev_b32_e32 v8, 16, v22
	v_mul_f16_sdwa v9, v50, v22 dst_sel:DWORD dst_unused:UNUSED_PAD src0_sel:WORD_1 src1_sel:DWORD
	v_mul_f16_sdwa v21, v43, v16 dst_sel:DWORD dst_unused:UNUSED_PAD src0_sel:WORD_1 src1_sel:DWORD
	v_fmac_f16_e32 v29, v49, v20
	v_mul_f16_sdwa v20, v42, v12 dst_sel:DWORD dst_unused:UNUSED_PAD src0_sel:WORD_1 src1_sel:DWORD
	v_mul_f16_sdwa v31, v50, v8 dst_sel:DWORD dst_unused:UNUSED_PAD src0_sel:WORD_1 src1_sel:DWORD
	v_fma_f16 v30, v50, v8, -v9
	v_lshrrev_b32_e32 v8, 16, v24
	v_mul_f16_sdwa v9, v51, v24 dst_sel:DWORD dst_unused:UNUSED_PAD src0_sel:WORD_1 src1_sel:DWORD
	v_fmac_f16_e32 v20, v42, v23
	v_fmac_f16_e32 v31, v50, v22
	;; [unrolled: 1-line block ×3, first 2 shown]
	v_mul_f16_sdwa v33, v51, v8 dst_sel:DWORD dst_unused:UNUSED_PAD src0_sel:WORD_1 src1_sel:DWORD
	v_fma_f16 v32, v51, v8, -v9
	v_lshrrev_b32_e32 v8, 16, v13
	v_mul_f16_sdwa v9, v40, v13 dst_sel:DWORD dst_unused:UNUSED_PAD src0_sel:WORD_1 src1_sel:DWORD
	v_fma_f16 v25, v41, v10, -v11
	v_fmac_f16_e32 v33, v51, v24
	v_fma_f16 v24, v43, v16, -v17
	v_mul_f16_sdwa v14, v40, v8 dst_sel:DWORD dst_unused:UNUSED_PAD src0_sel:WORD_1 src1_sel:DWORD
	v_fma_f16 v22, v40, v8, -v9
	v_sub_f16_e32 v8, v157, v159
	v_sub_f16_e32 v9, v163, v161
	;; [unrolled: 1-line block ×3, first 2 shown]
	v_fmac_f16_e32 v14, v40, v13
	v_mul_f16_sdwa v13, v42, v23 dst_sel:DWORD dst_unused:UNUSED_PAD src0_sel:WORD_1 src1_sel:DWORD
	v_sub_f16_e32 v43, v157, v163
	v_add_f16_e32 v40, v8, v9
	v_sub_f16_e32 v8, v156, v158
	v_sub_f16_e32 v9, v162, v160
	v_fma_f16 v23, v42, v12, -v13
	ds_read2_b32 v[12:13], v144 offset1:125
	v_sub_f16_e32 v50, v159, v161
	v_add_f16_e32 v51, v157, v163
	v_add_f16_e32 v8, v8, v9
	s_waitcnt lgkmcnt(0)
	v_lshrrev_b32_e32 v10, 16, v12
	v_add_f16_e32 v9, v12, v157
	v_add_f16_e32 v11, v10, v156
	;; [unrolled: 1-line block ×3, first 2 shown]
	v_fma_f16 v19, -0.5, v19, v10
	v_add_f16_e32 v11, v11, v158
	v_add_f16_e32 v9, v9, v161
	v_fmamk_f16 v41, v43, 0x3b9c, v19
	v_fmac_f16_e32 v19, 0xbb9c, v43
	v_add_f16_e32 v11, v11, v160
	v_add_f16_e32 v9, v9, v163
	v_fmac_f16_e32 v41, 0x38b4, v50
	v_fmac_f16_e32 v19, 0xb8b4, v50
	v_add_f16_e32 v11, v11, v162
	v_fmac_f16_e32 v41, 0x34f2, v8
	v_fmac_f16_e32 v19, 0x34f2, v8
	v_pack_b32_f16 v9, v9, v11
	v_add_f16_e32 v11, v159, v161
	v_fma_f16 v11, -0.5, v11, v12
	v_fma_f16 v12, -0.5, v51, v12
	v_fmamk_f16 v17, v16, 0xbb9c, v11
	v_fmamk_f16 v51, v18, 0x3b9c, v12
	v_fmac_f16_e32 v12, 0xbb9c, v18
	v_fmac_f16_e32 v11, 0x3b9c, v16
	v_fmac_f16_e32 v17, 0xb8b4, v18
	v_fmac_f16_e32 v51, 0xb8b4, v16
	v_fmac_f16_e32 v12, 0x38b4, v16
	v_fmac_f16_e32 v11, 0x38b4, v18
	v_sub_f16_e32 v16, v152, v155
	v_fmac_f16_e32 v17, 0x34f2, v40
	v_sub_f16_e32 v18, v154, v153
	v_fmac_f16_e32 v11, 0x34f2, v40
	v_sub_f16_e32 v40, v99, v150
	v_pack_b32_f16 v17, v17, v41
	ds_read2_b32 v[41:42], v137 offset0:122 offset1:247
	ds_read2_b32 v[48:49], v124 offset0:116 offset1:241
	s_waitcnt lgkmcnt(0)
	s_barrier
	buffer_gl0_inv
	ds_write2_b32 v176, v9, v17 offset1:15
	v_sub_f16_e32 v9, v159, v157
	v_sub_f16_e32 v17, v161, v163
	v_pack_b32_f16 v8, v11, v19
	v_lshrrev_b32_e32 v11, 16, v13
	v_add_f16_e32 v19, v154, v153
	v_add_f16_e32 v9, v9, v17
	;; [unrolled: 1-line block ×3, first 2 shown]
	ds_write_b32 v176, v8 offset:240
	v_sub_f16_e32 v8, v99, v100
	v_fma_f16 v19, -0.5, v19, v11
	v_fmac_f16_e32 v51, 0x34f2, v9
	v_fmac_f16_e32 v10, -0.5, v17
	v_sub_f16_e32 v17, v158, v156
	v_fmac_f16_e32 v12, 0x34f2, v9
	v_add_f16_e32 v9, v17, v56
	v_fmamk_f16 v17, v50, 0xbb9c, v10
	v_fmac_f16_e32 v10, 0x3b9c, v50
	v_sub_f16_e32 v50, v100, v149
	v_add_f16_e32 v56, v152, v155
	v_fmac_f16_e32 v17, 0x38b4, v43
	v_fmac_f16_e32 v10, 0xb8b4, v43
	v_fmamk_f16 v43, v40, 0x3b9c, v19
	v_fmac_f16_e32 v19, 0xbb9c, v40
	v_fmac_f16_e32 v17, 0x34f2, v9
	;; [unrolled: 1-line block ×5, first 2 shown]
	v_pack_b32_f16 v9, v51, v17
	v_pack_b32_f16 v10, v12, v10
	v_add_f16_e32 v12, v11, v152
	v_sub_f16_e32 v51, v154, v152
	v_fmac_f16_e32 v11, -0.5, v56
	ds_write2_b32 v176, v9, v10 offset0:30 offset1:45
	v_sub_f16_e32 v9, v150, v149
	v_sub_f16_e32 v10, v155, v153
	v_add_f16_e32 v12, v12, v154
	v_add_f16_e32 v8, v8, v9
	v_sub_f16_e32 v9, v152, v154
	v_add_f16_e32 v12, v12, v153
	v_add_f16_e32 v9, v9, v10
	;; [unrolled: 1-line block ×4, first 2 shown]
	v_fmac_f16_e32 v43, 0x34f2, v9
	v_add_f16_e32 v10, v10, v100
	v_fmac_f16_e32 v19, 0x34f2, v9
	v_sub_f16_e32 v9, v98, v55
	v_add_f16_e32 v10, v10, v149
	v_add_f16_e32 v10, v10, v150
	v_pack_b32_f16 v10, v10, v12
	v_add_f16_e32 v12, v100, v149
	v_fma_f16 v12, -0.5, v12, v13
	v_fmamk_f16 v17, v16, 0xbb9c, v12
	v_fmac_f16_e32 v12, 0x3b9c, v16
	v_fmac_f16_e32 v17, 0xb8b4, v18
	;; [unrolled: 1-line block ×5, first 2 shown]
	v_pack_b32_f16 v17, v17, v43
	v_sub_f16_e32 v43, v149, v150
	v_pack_b32_f16 v8, v12, v19
	v_sub_f16_e32 v19, v47, v98
	ds_write2_b32 v183, v10, v17 offset1:15
	v_add_f16_e32 v17, v99, v150
	v_sub_f16_e32 v10, v100, v99
	ds_write_b32 v183, v8 offset:240
	v_sub_f16_e32 v8, v47, v53
	v_fmac_f16_e32 v13, -0.5, v17
	v_add_f16_e32 v10, v10, v43
	v_add_f16_e32 v17, v51, v57
	v_fmamk_f16 v51, v50, 0xbb9c, v11
	v_fmac_f16_e32 v11, 0x3b9c, v50
	v_fmamk_f16 v43, v18, 0x3b9c, v13
	v_fmac_f16_e32 v13, 0xbb9c, v18
	v_add_f16_e32 v8, v8, v9
	v_fmac_f16_e32 v51, 0x38b4, v40
	v_fmac_f16_e32 v11, 0xb8b4, v40
	;; [unrolled: 1-line block ×4, first 2 shown]
	v_sub_f16_e32 v9, v46, v52
	v_fmac_f16_e32 v51, 0x34f2, v17
	v_fmac_f16_e32 v11, 0x34f2, v17
	v_fmac_f16_e32 v43, 0x34f2, v10
	v_fmac_f16_e32 v13, 0x34f2, v10
	v_add_f16_e32 v18, v52, v54
	v_sub_f16_e32 v17, v52, v54
	v_pack_b32_f16 v10, v43, v51
	v_pack_b32_f16 v11, v13, v11
	v_sub_f16_e32 v13, v46, v97
	v_sub_f16_e32 v43, v53, v55
	ds_write2_b32 v183, v10, v11 offset0:30 offset1:45
	v_sub_f16_e32 v10, v97, v54
	v_lshrrev_b32_e32 v11, 16, v41
	v_add_f16_e32 v9, v9, v10
	v_add_f16_e32 v10, v41, v47
	;; [unrolled: 1-line block ×3, first 2 shown]
	v_fma_f16 v18, -0.5, v18, v11
	v_add_f16_e32 v10, v10, v53
	v_add_f16_e32 v12, v12, v52
	v_fmamk_f16 v40, v19, 0x3b9c, v18
	v_fmac_f16_e32 v18, 0xbb9c, v19
	v_add_f16_e32 v10, v10, v55
	v_add_f16_e32 v12, v12, v54
	v_fmac_f16_e32 v40, 0x38b4, v43
	v_fmac_f16_e32 v18, 0xb8b4, v43
	v_add_f16_e32 v10, v10, v98
	v_add_f16_e32 v12, v12, v97
	v_fmac_f16_e32 v40, 0x34f2, v9
	v_fmac_f16_e32 v18, 0x34f2, v9
	v_sub_f16_e32 v9, v37, v36
	v_pack_b32_f16 v10, v10, v12
	v_add_f16_e32 v12, v53, v55
	v_fma_f16 v12, -0.5, v12, v41
	v_fmamk_f16 v16, v13, 0xbb9c, v12
	v_fmac_f16_e32 v12, 0x3b9c, v13
	v_fmac_f16_e32 v16, 0xb8b4, v17
	;; [unrolled: 1-line block ×5, first 2 shown]
	v_pack_b32_f16 v16, v16, v40
	v_add_f16_e32 v40, v47, v98
	v_pack_b32_f16 v8, v12, v18
	v_add_f16_e32 v18, v44, v39
	ds_write2_b32 v188, v10, v16 offset1:15
	v_sub_f16_e32 v10, v53, v47
	v_sub_f16_e32 v16, v55, v98
	v_fma_f16 v40, -0.5, v40, v41
	ds_write_b32 v188, v8 offset:240
	v_sub_f16_e32 v8, v34, v35
	v_add_f16_e32 v10, v10, v16
	v_add_f16_e32 v16, v46, v97
	v_fmamk_f16 v41, v17, 0x3b9c, v40
	v_fmac_f16_e32 v40, 0xbb9c, v17
	v_add_f16_e32 v8, v8, v9
	v_sub_f16_e32 v9, v38, v44
	v_fmac_f16_e32 v11, -0.5, v16
	v_sub_f16_e32 v16, v52, v46
	v_sub_f16_e32 v46, v54, v97
	v_fmac_f16_e32 v41, 0xb8b4, v13
	v_fmac_f16_e32 v40, 0x38b4, v13
	v_sub_f16_e32 v13, v38, v45
	v_sub_f16_e32 v17, v44, v39
	v_fmac_f16_e32 v41, 0x34f2, v10
	v_fmac_f16_e32 v40, 0x34f2, v10
	v_add_f16_e32 v10, v16, v46
	v_fmamk_f16 v16, v43, 0xbb9c, v11
	v_fmac_f16_e32 v11, 0x3b9c, v43
	v_fmac_f16_e32 v16, 0x38b4, v19
	;; [unrolled: 1-line block ×3, first 2 shown]
	v_sub_f16_e32 v19, v34, v37
	v_fmac_f16_e32 v16, 0x34f2, v10
	v_fmac_f16_e32 v11, 0x34f2, v10
	v_pack_b32_f16 v10, v41, v16
	v_pack_b32_f16 v11, v40, v11
	v_sub_f16_e32 v41, v35, v36
	ds_write2_b32 v188, v10, v11 offset0:30 offset1:45
	v_sub_f16_e32 v10, v45, v39
	v_lshrrev_b32_e32 v11, 16, v42
	v_add_f16_e32 v9, v9, v10
	v_add_f16_e32 v10, v42, v34
	;; [unrolled: 1-line block ×3, first 2 shown]
	v_fma_f16 v18, -0.5, v18, v11
	v_add_f16_e32 v10, v10, v35
	v_add_f16_e32 v12, v12, v44
	v_fmamk_f16 v40, v19, 0x3b9c, v18
	v_fmac_f16_e32 v18, 0xbb9c, v19
	v_add_f16_e32 v10, v10, v36
	v_add_f16_e32 v12, v12, v39
	v_fmac_f16_e32 v40, 0x38b4, v41
	v_fmac_f16_e32 v18, 0xb8b4, v41
	v_add_f16_e32 v10, v10, v37
	v_add_f16_e32 v12, v12, v45
	v_fmac_f16_e32 v40, 0x34f2, v9
	v_fmac_f16_e32 v18, 0x34f2, v9
	v_sub_f16_e32 v9, v33, v31
	v_pack_b32_f16 v10, v10, v12
	v_add_f16_e32 v12, v35, v36
	v_fma_f16 v12, -0.5, v12, v42
	v_fmamk_f16 v16, v13, 0xbb9c, v12
	v_fmac_f16_e32 v12, 0x3b9c, v13
	v_fmac_f16_e32 v16, 0xb8b4, v17
	;; [unrolled: 1-line block ×5, first 2 shown]
	v_pack_b32_f16 v16, v16, v40
	v_pack_b32_f16 v8, v12, v18
	v_add_f16_e32 v18, v28, v30
	ds_write2_b32 v189, v10, v16 offset1:15
	v_sub_f16_e32 v10, v35, v34
	v_add_f16_e32 v16, v34, v37
	v_sub_f16_e32 v34, v36, v37
	v_add_f16_e32 v36, v38, v45
	v_sub_f16_e32 v35, v44, v38
	v_sub_f16_e32 v37, v39, v45
	v_fmac_f16_e32 v42, -0.5, v16
	v_add_f16_e32 v10, v10, v34
	v_fmac_f16_e32 v11, -0.5, v36
	ds_write_b32 v189, v8 offset:240
	v_add_f16_e32 v16, v35, v37
	v_fmamk_f16 v34, v17, 0x3b9c, v42
	v_fmac_f16_e32 v42, 0xbb9c, v17
	v_fmamk_f16 v35, v41, 0xbb9c, v11
	v_fmac_f16_e32 v11, 0x3b9c, v41
	v_sub_f16_e32 v8, v27, v29
	v_fmac_f16_e32 v34, 0xb8b4, v13
	v_fmac_f16_e32 v42, 0x38b4, v13
	;; [unrolled: 1-line block ×4, first 2 shown]
	v_add_f16_e32 v8, v8, v9
	v_fmac_f16_e32 v34, 0x34f2, v10
	v_fmac_f16_e32 v42, 0x34f2, v10
	;; [unrolled: 1-line block ×4, first 2 shown]
	v_sub_f16_e32 v9, v26, v28
	v_sub_f16_e32 v13, v26, v32
	;; [unrolled: 1-line block ×3, first 2 shown]
	v_pack_b32_f16 v10, v34, v35
	v_pack_b32_f16 v11, v42, v11
	v_sub_f16_e32 v17, v28, v30
	v_sub_f16_e32 v35, v29, v31
	;; [unrolled: 1-line block ×3, first 2 shown]
	ds_write2_b32 v189, v10, v11 offset0:30 offset1:45
	v_sub_f16_e32 v10, v32, v30
	v_lshrrev_b32_e32 v11, 16, v48
	v_add_f16_e32 v9, v9, v10
	v_add_f16_e32 v10, v48, v27
	;; [unrolled: 1-line block ×3, first 2 shown]
	v_fma_f16 v18, -0.5, v18, v11
	v_add_f16_e32 v10, v10, v29
	v_add_f16_e32 v12, v12, v28
	v_fmamk_f16 v34, v19, 0x3b9c, v18
	v_fmac_f16_e32 v18, 0xbb9c, v19
	v_add_f16_e32 v10, v10, v31
	v_add_f16_e32 v12, v12, v30
	v_fmac_f16_e32 v34, 0x38b4, v35
	v_fmac_f16_e32 v18, 0xb8b4, v35
	v_add_f16_e32 v10, v10, v33
	v_add_f16_e32 v12, v12, v32
	v_fmac_f16_e32 v34, 0x34f2, v9
	v_fmac_f16_e32 v18, 0x34f2, v9
	v_sub_f16_e32 v9, v14, v15
	v_pack_b32_f16 v10, v10, v12
	v_add_f16_e32 v12, v29, v31
	v_fma_f16 v12, -0.5, v12, v48
	v_fmamk_f16 v16, v13, 0xbb9c, v12
	v_fmac_f16_e32 v12, 0x3b9c, v13
	v_fmac_f16_e32 v16, 0xb8b4, v17
	;; [unrolled: 1-line block ×5, first 2 shown]
	v_pack_b32_f16 v16, v16, v34
	v_pack_b32_f16 v8, v12, v18
	v_sub_f16_e32 v12, v21, v20
	ds_write2_b32 v184, v10, v16 offset1:15
	v_sub_f16_e32 v10, v29, v27
	v_sub_f16_e32 v16, v31, v33
	v_add_f16_e32 v27, v27, v33
	ds_write_b32 v184, v8 offset:240
	v_sub_f16_e32 v33, v15, v20
	v_add_f16_e32 v9, v9, v12
	v_add_f16_e32 v10, v10, v16
	;; [unrolled: 1-line block ×3, first 2 shown]
	v_fma_f16 v27, -0.5, v27, v48
	v_fmac_f16_e32 v11, -0.5, v16
	v_sub_f16_e32 v16, v28, v26
	v_fmamk_f16 v28, v17, 0x3b9c, v27
	v_fmac_f16_e32 v27, 0xbb9c, v17
	v_sub_f16_e32 v26, v30, v32
	v_sub_f16_e32 v30, v23, v24
	;; [unrolled: 1-line block ×3, first 2 shown]
	v_fmac_f16_e32 v28, 0xb8b4, v13
	v_fmac_f16_e32 v27, 0x38b4, v13
	;; [unrolled: 1-line block ×4, first 2 shown]
	v_add_f16_e32 v10, v16, v26
	v_fmamk_f16 v16, v35, 0xbb9c, v11
	v_fmac_f16_e32 v11, 0x3b9c, v35
	v_add_f16_e32 v26, v49, v14
	v_fmac_f16_e32 v16, 0x38b4, v19
	v_fmac_f16_e32 v11, 0xb8b4, v19
	v_add_f16_e32 v8, v26, v15
	v_fmac_f16_e32 v16, 0x34f2, v10
	v_fmac_f16_e32 v11, 0x34f2, v10
	v_add_f16_e32 v8, v8, v20
	v_pack_b32_f16 v10, v28, v16
	v_pack_b32_f16 v11, v27, v11
	v_lshrrev_b32_e32 v16, 16, v49
	v_sub_f16_e32 v27, v20, v21
	v_add_f16_e32 v28, v22, v24
	v_add_f16_e32 v8, v8, v21
	ds_write2_b32 v184, v10, v11 offset0:30 offset1:45
	v_add_f16_e32 v10, v15, v20
	v_add_f16_e32 v11, v14, v21
	;; [unrolled: 1-line block ×3, first 2 shown]
	v_fma_f16 v10, -0.5, v10, v49
	v_fmac_f16_e32 v49, -0.5, v11
	v_sub_f16_e32 v11, v15, v14
	v_add_f16_e32 v13, v29, v25
	v_sub_f16_e32 v14, v22, v25
	v_sub_f16_e32 v15, v24, v23
	v_add_f16_e32 v11, v11, v27
	v_add_f16_e32 v27, v25, v23
	;; [unrolled: 1-line block ×4, first 2 shown]
	v_fma_f16 v27, -0.5, v27, v16
	v_fmac_f16_e32 v16, -0.5, v28
	v_sub_f16_e32 v28, v25, v22
	v_add_f16_e32 v13, v13, v24
	v_fmamk_f16 v14, v36, 0x3b9c, v27
	v_fmamk_f16 v34, v33, 0xbb9c, v16
	v_add_f16_e32 v28, v28, v30
	v_sub_f16_e32 v30, v25, v23
	v_pack_b32_f16 v8, v8, v13
	v_fmamk_f16 v13, v32, 0xbb9c, v10
	v_fmac_f16_e32 v16, 0x3b9c, v33
	v_fmac_f16_e32 v14, 0x38b4, v33
	v_fmamk_f16 v31, v30, 0x3b9c, v49
	v_fmac_f16_e32 v49, 0xbb9c, v30
	v_fmac_f16_e32 v13, 0xb8b4, v30
	;; [unrolled: 1-line block ×12, first 2 shown]
	v_pack_b32_f16 v13, v13, v14
	v_fmac_f16_e32 v31, 0x34f2, v11
	v_fmac_f16_e32 v34, 0x34f2, v28
	;; [unrolled: 1-line block ×4, first 2 shown]
	v_pack_b32_f16 v16, v49, v16
	ds_write2_b32 v190, v8, v13 offset1:15
	v_pack_b32_f16 v8, v31, v34
	v_fmac_f16_e32 v10, 0x34f2, v9
	v_fmac_f16_e32 v27, 0x34f2, v12
	ds_write2_b32 v190, v8, v16 offset0:30 offset1:45
	v_pack_b32_f16 v8, v10, v27
	ds_write_b32 v190, v8 offset:240
	s_waitcnt lgkmcnt(0)
	s_barrier
	buffer_gl0_inv
	ds_read2_b32 v[12:13], v137 offset0:122 offset1:247
	ds_read2_b32 v[14:15], v128 offset0:110 offset1:235
	;; [unrolled: 1-line block ×5, first 2 shown]
	s_waitcnt lgkmcnt(4)
	v_lshrrev_b32_e32 v8, 16, v13
	v_mul_f16_sdwa v9, v88, v13 dst_sel:DWORD dst_unused:UNUSED_PAD src0_sel:WORD_1 src1_sel:DWORD
	s_waitcnt lgkmcnt(1)
	v_lshrrev_b32_e32 v10, 16, v24
	v_mul_f16_sdwa v11, v95, v24 dst_sel:DWORD dst_unused:UNUSED_PAD src0_sel:WORD_1 src1_sel:DWORD
	v_mul_f16_sdwa v45, v88, v8 dst_sel:DWORD dst_unused:UNUSED_PAD src0_sel:WORD_1 src1_sel:DWORD
	v_fma_f16 v46, v88, v8, -v9
	v_lshrrev_b32_e32 v8, 16, v14
	v_mul_f16_sdwa v9, v89, v14 dst_sel:DWORD dst_unused:UNUSED_PAD src0_sel:WORD_1 src1_sel:DWORD
	v_mul_f16_sdwa v34, v95, v10 dst_sel:DWORD dst_unused:UNUSED_PAD src0_sel:WORD_1 src1_sel:DWORD
	v_fmac_f16_e32 v45, v88, v13
	v_fma_f16 v33, v95, v10, -v11
	v_mul_f16_sdwa v50, v89, v8 dst_sel:DWORD dst_unused:UNUSED_PAD src0_sel:WORD_1 src1_sel:DWORD
	v_fma_f16 v49, v89, v8, -v9
	v_lshrrev_b32_e32 v8, 16, v22
	v_mul_f16_sdwa v9, v90, v22 dst_sel:DWORD dst_unused:UNUSED_PAD src0_sel:WORD_1 src1_sel:DWORD
	v_lshrrev_b32_e32 v10, 16, v21
	v_fmac_f16_e32 v50, v89, v14
	ds_read2_b32 v[13:14], v124 offset0:116 offset1:241
	v_mul_f16_sdwa v48, v90, v8 dst_sel:DWORD dst_unused:UNUSED_PAD src0_sel:WORD_1 src1_sel:DWORD
	v_fma_f16 v47, v90, v8, -v9
	v_lshrrev_b32_e32 v8, 16, v23
	v_mul_f16_sdwa v9, v91, v23 dst_sel:DWORD dst_unused:UNUSED_PAD src0_sel:WORD_1 src1_sel:DWORD
	v_mul_f16_sdwa v20, v110, v10 dst_sel:DWORD dst_unused:UNUSED_PAD src0_sel:WORD_1 src1_sel:DWORD
	v_fmac_f16_e32 v48, v90, v22
	v_mul_f16_sdwa v11, v110, v21 dst_sel:DWORD dst_unused:UNUSED_PAD src0_sel:WORD_1 src1_sel:DWORD
	v_mul_f16_sdwa v52, v91, v8 dst_sel:DWORD dst_unused:UNUSED_PAD src0_sel:WORD_1 src1_sel:DWORD
	v_fma_f16 v51, v91, v8, -v9
	v_lshrrev_b32_e32 v8, 16, v15
	v_mul_f16_sdwa v9, v93, v15 dst_sel:DWORD dst_unused:UNUSED_PAD src0_sel:WORD_1 src1_sel:DWORD
	v_fmac_f16_e32 v20, v110, v21
	v_fmac_f16_e32 v52, v91, v23
	ds_read2_b32 v[22:23], v146 offset0:98 offset1:223
	v_mul_f16_sdwa v31, v93, v8 dst_sel:DWORD dst_unused:UNUSED_PAD src0_sel:WORD_1 src1_sel:DWORD
	v_fma_f16 v32, v93, v8, -v9
	v_fmac_f16_e32 v34, v95, v24
	ds_read2_b32 v[24:25], v135 offset0:68 offset1:193
	s_waitcnt lgkmcnt(2)
	v_lshrrev_b32_e32 v8, 16, v13
	v_mul_f16_sdwa v9, v92, v13 dst_sel:DWORD dst_unused:UNUSED_PAD src0_sel:WORD_1 src1_sel:DWORD
	v_fmac_f16_e32 v31, v93, v15
	v_fma_f16 v15, v110, v10, -v11
	v_lshrrev_b32_e32 v10, 16, v27
	v_mul_f16_sdwa v28, v92, v8 dst_sel:DWORD dst_unused:UNUSED_PAD src0_sel:WORD_1 src1_sel:DWORD
	v_fma_f16 v30, v92, v8, -v9
	v_mul_f16_sdwa v11, v83, v27 dst_sel:DWORD dst_unused:UNUSED_PAD src0_sel:WORD_1 src1_sel:DWORD
	v_add_f16_e32 v93, v46, v47
	v_mul_f16_sdwa v40, v83, v10 dst_sel:DWORD dst_unused:UNUSED_PAD src0_sel:WORD_1 src1_sel:DWORD
	v_fmac_f16_e32 v28, v92, v13
	v_add_f16_e32 v92, v45, v48
	v_fma_f16 v38, v83, v10, -v11
	s_waitcnt lgkmcnt(1)
	v_lshrrev_b32_e32 v8, 16, v22
	v_lshrrev_b32_e32 v16, 16, v23
	v_mul_f16_sdwa v9, v94, v22 dst_sel:DWORD dst_unused:UNUSED_PAD src0_sel:WORD_1 src1_sel:DWORD
	v_mul_f16_sdwa v17, v111, v23 dst_sel:DWORD dst_unused:UNUSED_PAD src0_sel:WORD_1 src1_sel:DWORD
	s_waitcnt lgkmcnt(0)
	v_lshrrev_b32_e32 v10, 16, v24
	v_mul_f16_sdwa v36, v94, v8 dst_sel:DWORD dst_unused:UNUSED_PAD src0_sel:WORD_1 src1_sel:DWORD
	v_mul_f16_sdwa v21, v111, v16 dst_sel:DWORD dst_unused:UNUSED_PAD src0_sel:WORD_1 src1_sel:DWORD
	v_fma_f16 v35, v94, v8, -v9
	v_lshrrev_b32_e32 v8, 16, v14
	v_mul_f16_sdwa v9, v109, v14 dst_sel:DWORD dst_unused:UNUSED_PAD src0_sel:WORD_1 src1_sel:DWORD
	v_fmac_f16_e32 v36, v94, v22
	v_fmac_f16_e32 v21, v111, v23
	ds_read2_b32 v[22:23], v210 offset0:86 offset1:211
	v_mul_f16_sdwa v13, v109, v8 dst_sel:DWORD dst_unused:UNUSED_PAD src0_sel:WORD_1 src1_sel:DWORD
	v_fma_f16 v17, v111, v16, -v17
	v_mul_f16_sdwa v11, v114, v24 dst_sel:DWORD dst_unused:UNUSED_PAD src0_sel:WORD_1 src1_sel:DWORD
	v_fmac_f16_e32 v40, v83, v27
	v_fmac_f16_e32 v13, v109, v14
	v_fma_f16 v14, v109, v8, -v9
	s_waitcnt lgkmcnt(0)
	v_lshrrev_b32_e32 v8, 16, v22
	v_mul_f16_sdwa v9, v112, v22 dst_sel:DWORD dst_unused:UNUSED_PAD src0_sel:WORD_1 src1_sel:DWORD
	v_mul_f16_sdwa v18, v112, v8 dst_sel:DWORD dst_unused:UNUSED_PAD src0_sel:WORD_1 src1_sel:DWORD
	v_fma_f16 v16, v112, v8, -v9
	v_lshrrev_b32_e32 v8, 16, v23
	v_mul_f16_sdwa v9, v72, v23 dst_sel:DWORD dst_unused:UNUSED_PAD src0_sel:WORD_1 src1_sel:DWORD
	v_fmac_f16_e32 v18, v112, v22
	v_mul_f16_sdwa v55, v72, v8 dst_sel:DWORD dst_unused:UNUSED_PAD src0_sel:WORD_1 src1_sel:DWORD
	v_fma_f16 v53, v72, v8, -v9
	v_fmac_f16_e32 v55, v72, v23
	ds_read2_b32 v[22:23], v123 offset0:74 offset1:199
	v_add_f16_e32 v93, v93, v53
	v_add_f16_e32 v92, v92, v55
	s_waitcnt lgkmcnt(0)
	v_lshrrev_b32_e32 v8, 16, v22
	v_mul_f16_sdwa v9, v73, v22 dst_sel:DWORD dst_unused:UNUSED_PAD src0_sel:WORD_1 src1_sel:DWORD
	v_mul_f16_sdwa v58, v73, v8 dst_sel:DWORD dst_unused:UNUSED_PAD src0_sel:WORD_1 src1_sel:DWORD
	v_fma_f16 v57, v73, v8, -v9
	v_lshrrev_b32_e32 v8, 16, v25
	v_mul_f16_sdwa v9, v74, v25 dst_sel:DWORD dst_unused:UNUSED_PAD src0_sel:WORD_1 src1_sel:DWORD
	v_fmac_f16_e32 v58, v73, v22
	v_sub_f16_e32 v100, v51, v57
	v_mul_f16_sdwa v56, v74, v8 dst_sel:DWORD dst_unused:UNUSED_PAD src0_sel:WORD_1 src1_sel:DWORD
	v_fma_f16 v54, v74, v8, -v9
	v_lshrrev_b32_e32 v8, 16, v26
	v_mul_f16_sdwa v9, v75, v26 dst_sel:DWORD dst_unused:UNUSED_PAD src0_sel:WORD_1 src1_sel:DWORD
	v_sub_f16_e32 v104, v52, v58
	v_fmac_f16_e32 v56, v74, v25
	v_add_f16_e32 v95, v93, v54
	v_mul_f16_sdwa v60, v75, v8 dst_sel:DWORD dst_unused:UNUSED_PAD src0_sel:WORD_1 src1_sel:DWORD
	v_fma_f16 v59, v75, v8, -v9
	v_lshrrev_b32_e32 v8, 16, v23
	v_mul_f16_sdwa v9, v81, v23 dst_sel:DWORD dst_unused:UNUSED_PAD src0_sel:WORD_1 src1_sel:DWORD
	v_add_f16_e32 v94, v92, v56
	v_fmac_f16_e32 v60, v75, v26
	ds_read2_b32 v[25:26], v127 offset0:62 offset1:187
	v_mul_f16_sdwa v39, v81, v8 dst_sel:DWORD dst_unused:UNUSED_PAD src0_sel:WORD_1 src1_sel:DWORD
	v_fma_f16 v37, v81, v8, -v9
	v_sub_f16_e32 v98, v49, v59
	v_sub_f16_e32 v102, v50, v60
	v_fmac_f16_e32 v39, v81, v23
	ds_read2_b32 v[22:23], v139 offset0:80 offset1:205
	v_sub_f16_e32 v81, v55, v56
	s_waitcnt lgkmcnt(1)
	v_mul_f16_sdwa v27, v115, v26 dst_sel:DWORD dst_unused:UNUSED_PAD src0_sel:WORD_1 src1_sel:DWORD
	s_waitcnt lgkmcnt(0)
	v_lshrrev_b32_e32 v8, 16, v22
	v_mul_f16_sdwa v9, v80, v22 dst_sel:DWORD dst_unused:UNUSED_PAD src0_sel:WORD_1 src1_sel:DWORD
	v_mul_f16_sdwa v43, v80, v8 dst_sel:DWORD dst_unused:UNUSED_PAD src0_sel:WORD_1 src1_sel:DWORD
	v_fma_f16 v41, v80, v8, -v9
	v_lshrrev_b32_e32 v8, 16, v25
	v_mul_f16_sdwa v9, v82, v25 dst_sel:DWORD dst_unused:UNUSED_PAD src0_sel:WORD_1 src1_sel:DWORD
	v_fmac_f16_e32 v43, v80, v22
	v_fma_f16 v22, v114, v10, -v11
	v_mul_f16_sdwa v44, v82, v8 dst_sel:DWORD dst_unused:UNUSED_PAD src0_sel:WORD_1 src1_sel:DWORD
	v_fma_f16 v42, v82, v8, -v9
	v_lshrrev_b32_e32 v8, 16, v23
	v_mul_f16_sdwa v9, v113, v23 dst_sel:DWORD dst_unused:UNUSED_PAD src0_sel:WORD_1 src1_sel:DWORD
	v_fmac_f16_e32 v44, v82, v25
	v_lshrrev_b32_e32 v25, 16, v26
	v_mul_f16_sdwa v19, v113, v8 dst_sel:DWORD dst_unused:UNUSED_PAD src0_sel:WORD_1 src1_sel:DWORD
	v_sub_f16_e32 v82, v53, v54
	v_fma_f16 v27, v115, v25, -v27
	v_fmac_f16_e32 v19, v113, v23
	v_mul_f16_sdwa v23, v114, v10 dst_sel:DWORD dst_unused:UNUSED_PAD src0_sel:WORD_1 src1_sel:DWORD
	v_fmac_f16_e32 v23, v114, v24
	v_mul_f16_sdwa v24, v115, v25 dst_sel:DWORD dst_unused:UNUSED_PAD src0_sel:WORD_1 src1_sel:DWORD
	v_fmac_f16_e32 v24, v115, v26
	v_fma_f16 v26, v113, v8, -v9
	ds_read2_b32 v[8:9], v193 offset0:50 offset1:175
	s_waitcnt lgkmcnt(0)
	v_lshrrev_b32_e32 v10, 16, v8
	v_mul_f16_sdwa v11, v116, v8 dst_sel:DWORD dst_unused:UNUSED_PAD src0_sel:WORD_1 src1_sel:DWORD
	v_mul_f16_sdwa v29, v116, v10 dst_sel:DWORD dst_unused:UNUSED_PAD src0_sel:WORD_1 src1_sel:DWORD
	v_fma_f16 v25, v116, v10, -v11
	v_fmac_f16_e32 v29, v116, v8
	v_lshrrev_b32_e32 v8, 16, v9
	v_mul_f16_sdwa v63, v196, v8 dst_sel:DWORD dst_unused:UNUSED_PAD src0_sel:WORD_1 src1_sel:DWORD
	v_fmac_f16_e32 v63, v196, v9
	v_mul_f16_sdwa v9, v196, v9 dst_sel:DWORD dst_unused:UNUSED_PAD src0_sel:WORD_1 src1_sel:DWORD
	v_sub_f16_e32 v83, v48, v63
	v_fma_f16 v62, v196, v8, -v9
	v_sub_f16_e32 v8, v50, v52
	v_sub_f16_e32 v9, v60, v58
	v_add_f16_e32 v94, v94, v63
	v_sub_f16_e32 v88, v47, v62
	v_add_f16_e32 v95, v95, v62
	v_add_f16_e32 v61, v8, v9
	v_sub_f16_e32 v8, v49, v51
	v_sub_f16_e32 v9, v59, v57
	v_add_f16_e32 v72, v8, v9
	v_sub_f16_e32 v8, v48, v55
	v_sub_f16_e32 v9, v63, v56
	;; [unrolled: 3-line block ×3, first 2 shown]
	v_add_f16_e32 v80, v8, v9
	v_add_f16_e32 v8, v55, v56
	v_fma_f16 v74, -0.5, v8, v45
	v_add_f16_e32 v8, v53, v54
	v_fmamk_f16 v9, v88, 0xbb9c, v74
	v_fma_f16 v75, -0.5, v8, v46
	v_fmac_f16_e32 v74, 0x3b9c, v88
	v_fmac_f16_e32 v9, 0xb8b4, v82
	v_fmamk_f16 v8, v83, 0x3b9c, v75
	v_fmac_f16_e32 v75, 0xbb9c, v83
	v_fmac_f16_e32 v74, 0x38b4, v82
	;; [unrolled: 1-line block ×6, first 2 shown]
	v_sub_f16_e32 v73, v33, v37
	v_fmac_f16_e32 v8, 0x34f2, v80
	v_fmac_f16_e32 v75, 0x34f2, v80
	v_sub_f16_e32 v80, v31, v40
	v_mul_f16_e32 v89, 0xb8b4, v8
	v_mul_f16_e32 v91, 0x3a79, v8
	v_fmac_f16_e32 v89, 0x3a79, v9
	v_fmac_f16_e32 v91, 0x38b4, v9
	ds_read2_b32 v[8:9], v144 offset1:125
	s_waitcnt lgkmcnt(0)
	v_lshrrev_b32_e32 v90, 16, v8
	v_add_f16_e32 v10, v8, v50
	v_add_f16_e32 v11, v90, v49
	v_add_f16_e32 v10, v10, v52
	v_add_f16_e32 v11, v11, v51
	v_add_f16_e32 v10, v10, v58
	v_add_f16_e32 v11, v11, v57
	v_add_f16_e32 v92, v10, v60
	v_add_f16_e32 v93, v11, v59
	v_add_f16_e32 v10, v92, v94
	v_add_f16_e32 v11, v93, v95
	v_pack_b32_f16 v96, v10, v11
	v_add_f16_e32 v10, v52, v58
	v_sub_f16_e32 v52, v52, v50
	v_add_f16_e32 v50, v50, v60
	v_sub_f16_e32 v58, v58, v60
	v_add_f16_e32 v60, v28, v36
	v_fma_f16 v97, -0.5, v10, v8
	v_add_f16_e32 v10, v51, v57
	v_sub_f16_e32 v51, v51, v49
	v_add_f16_e32 v49, v49, v59
	v_fma_f16 v8, -0.5, v50, v8
	v_sub_f16_e32 v57, v57, v59
	v_fma_f16 v101, -0.5, v10, v90
	v_add_f16_e32 v52, v52, v58
	v_fmac_f16_e32 v90, -0.5, v49
	v_fmamk_f16 v50, v100, 0x3b9c, v8
	v_fmac_f16_e32 v8, 0xbb9c, v100
	v_add_f16_e32 v49, v51, v57
	v_sub_f16_e32 v51, v55, v48
	v_add_f16_e32 v48, v48, v63
	v_fmac_f16_e32 v50, 0xb8b4, v98
	v_fmac_f16_e32 v8, 0x38b4, v98
	v_fmamk_f16 v55, v104, 0xbb9c, v90
	v_fmac_f16_e32 v90, 0x3b9c, v104
	v_fmac_f16_e32 v45, -0.5, v48
	v_fmac_f16_e32 v50, 0x34f2, v52
	v_fmac_f16_e32 v8, 0x34f2, v52
	v_sub_f16_e32 v52, v56, v63
	v_fmac_f16_e32 v55, 0x38b4, v102
	v_fmac_f16_e32 v90, 0xb8b4, v102
	v_fmamk_f16 v99, v98, 0xbb9c, v97
	v_fmamk_f16 v103, v102, 0x3b9c, v101
	v_add_f16_e32 v48, v51, v52
	v_fmac_f16_e32 v55, 0x34f2, v49
	v_fmac_f16_e32 v90, 0x34f2, v49
	v_add_f16_e32 v49, v47, v62
	v_fmamk_f16 v51, v82, 0x3b9c, v45
	v_fmac_f16_e32 v45, 0xbb9c, v82
	v_sub_f16_e32 v47, v53, v47
	v_fmac_f16_e32 v99, 0xb8b4, v100
	v_fmac_f16_e32 v46, -0.5, v49
	v_fmac_f16_e32 v51, 0xb8b4, v88
	v_fmac_f16_e32 v45, 0x38b4, v88
	v_sub_f16_e32 v49, v54, v62
	v_fmac_f16_e32 v103, 0x38b4, v104
	v_fmac_f16_e32 v99, 0x34f2, v61
	;; [unrolled: 1-line block ×4, first 2 shown]
	v_fmamk_f16 v48, v81, 0xbb9c, v46
	v_add_f16_e32 v47, v47, v49
	v_fmac_f16_e32 v46, 0x3b9c, v81
	v_fmac_f16_e32 v103, 0x34f2, v72
	v_add_f16_e32 v10, v99, v89
	v_fmac_f16_e32 v48, 0x38b4, v83
	v_fmac_f16_e32 v97, 0x3b9c, v98
	;; [unrolled: 1-line block ×3, first 2 shown]
	v_add_f16_e32 v11, v103, v91
	v_fmac_f16_e32 v101, 0xbb9c, v102
	v_fmac_f16_e32 v48, 0x34f2, v47
	;; [unrolled: 1-line block ×4, first 2 shown]
	v_pack_b32_f16 v105, v10, v11
	ds_read2_b32 v[10:11], v120 offset0:44 offset1:169
	v_mul_f16_e32 v47, 0xbb9c, v48
	v_mul_f16_e32 v48, 0x34f2, v48
	;; [unrolled: 1-line block ×4, first 2 shown]
	s_waitcnt lgkmcnt(0)
	v_fmac_f16_e32 v47, 0x34f2, v51
	v_fmac_f16_e32 v48, 0x3b9c, v51
	;; [unrolled: 1-line block ×4, first 2 shown]
	s_barrier
	v_add_f16_e32 v45, v50, v47
	v_add_f16_e32 v51, v55, v48
	buffer_gl0_inv
	v_add_f16_e32 v52, v90, v46
	v_fmac_f16_e32 v101, 0xb8b4, v104
	v_fmac_f16_e32 v97, 0x34f2, v61
	v_pack_b32_f16 v45, v45, v51
	v_add_f16_e32 v51, v8, v49
	v_sub_f16_e32 v53, v93, v95
	v_fmac_f16_e32 v101, 0x34f2, v72
	v_sub_f16_e32 v47, v50, v47
	v_sub_f16_e32 v50, v103, v91
	v_pack_b32_f16 v51, v51, v52
	v_sub_f16_e32 v52, v92, v94
	v_sub_f16_e32 v48, v55, v48
	;; [unrolled: 1-line block ×4, first 2 shown]
	ds_write2_b32 v126, v45, v51 offset0:150 offset1:225
	v_mul_f16_e32 v45, 0xb8b4, v75
	v_mul_f16_e32 v51, 0xba79, v75
	v_pack_b32_f16 v52, v52, v53
	v_pack_b32_f16 v47, v47, v48
	;; [unrolled: 1-line block ×3, first 2 shown]
	v_fmac_f16_e32 v45, 0xba79, v74
	v_fmac_f16_e32 v51, 0x38b4, v74
	v_sub_f16_e32 v46, v40, v39
	v_sub_f16_e32 v55, v41, v42
	v_lshrrev_b32_e32 v58, 16, v9
	v_add_f16_e32 v54, v97, v45
	v_add_f16_e32 v56, v101, v51
	v_sub_f16_e32 v45, v97, v45
	v_add_f16_e32 v61, v30, v35
	v_add_f16_e32 v59, v58, v32
	;; [unrolled: 1-line block ×3, first 2 shown]
	v_pack_b32_f16 v54, v54, v56
	v_add_f16_e32 v75, v33, v37
	v_add_f16_e32 v61, v61, v41
	;; [unrolled: 1-line block ×4, first 2 shown]
	ds_write2_b32 v220, v54, v52 offset0:44 offset1:119
	v_sub_f16_e32 v52, v99, v89
	v_add_f16_e32 v61, v61, v42
	v_add_f16_e32 v59, v59, v37
	v_sub_f16_e32 v72, v32, v38
	v_fma_f16 v75, -0.5, v75, v58
	v_pack_b32_f16 v50, v52, v50
	v_sub_f16_e32 v52, v43, v44
	v_add_f16_e32 v59, v59, v38
	v_sub_f16_e32 v81, v34, v39
	v_fmamk_f16 v82, v80, 0x3b9c, v75
	ds_write2_b32 v194, v50, v47 offset0:66 offset1:141
	v_sub_f16_e32 v47, v101, v51
	v_add_f16_e32 v50, v41, v42
	ds_write2_b32 v126, v96, v105 offset1:75
	v_fmac_f16_e32 v82, 0x38b4, v81
	v_fmac_f16_e32 v75, 0xbb9c, v80
	v_pack_b32_f16 v45, v45, v47
	v_sub_f16_e32 v47, v38, v37
	v_fma_f16 v50, -0.5, v50, v30
	v_fmac_f16_e32 v75, 0xb8b4, v81
	ds_write2_b32 v195, v8, v45 offset0:88 offset1:163
	v_lshrrev_b32_e32 v8, 16, v10
	v_mul_f16_sdwa v45, v191, v10 dst_sel:DWORD dst_unused:UNUSED_PAD src0_sel:WORD_1 src1_sel:DWORD
	v_fma_f16 v45, v191, v8, -v45
	v_mul_f16_sdwa v8, v191, v8 dst_sel:DWORD dst_unused:UNUSED_PAD src0_sel:WORD_1 src1_sel:DWORD
	v_sub_f16_e32 v49, v45, v42
	v_fmac_f16_e32 v8, v191, v10
	v_sub_f16_e32 v10, v31, v34
	v_sub_f16_e32 v54, v35, v45
	v_add_f16_e32 v61, v61, v45
	v_sub_f16_e32 v48, v8, v44
	v_add_f16_e32 v10, v10, v46
	v_sub_f16_e32 v46, v32, v33
	v_sub_f16_e32 v51, v36, v8
	v_add_f16_e32 v60, v60, v8
	v_add_f16_e32 v63, v59, v61
	;; [unrolled: 1-line block ×3, first 2 shown]
	v_sub_f16_e32 v47, v36, v43
	v_fmamk_f16 v53, v51, 0x3b9c, v50
	v_fmac_f16_e32 v50, 0xbb9c, v51
	v_fmac_f16_e32 v82, 0x34f2, v46
	v_add_f16_e32 v47, v47, v48
	v_sub_f16_e32 v48, v35, v41
	v_fmac_f16_e32 v53, 0x38b4, v52
	v_fmac_f16_e32 v50, 0xb8b4, v52
	;; [unrolled: 1-line block ×3, first 2 shown]
	v_sub_f16_e32 v46, v15, v25
	v_add_f16_e32 v48, v48, v49
	v_add_f16_e32 v49, v43, v44
	v_fmac_f16_e32 v53, 0x34f2, v48
	v_fma_f16 v49, -0.5, v49, v28
	v_fmac_f16_e32 v50, 0x34f2, v48
	v_mul_f16_e32 v57, 0xb8b4, v53
	v_fmamk_f16 v56, v54, 0xbb9c, v49
	v_mul_f16_e32 v53, 0x3a79, v53
	v_fmac_f16_e32 v49, 0x3b9c, v54
	v_fmac_f16_e32 v56, 0xb8b4, v55
	;; [unrolled: 1-line block ×5, first 2 shown]
	v_sub_f16_e32 v47, v16, v22
	v_fmac_f16_e32 v57, 0x3a79, v56
	v_fmac_f16_e32 v53, 0x38b4, v56
	v_add_f16_e32 v56, v9, v31
	v_add_f16_e32 v88, v82, v53
	;; [unrolled: 1-line block ×6, first 2 shown]
	v_pack_b32_f16 v62, v62, v63
	v_add_f16_e32 v63, v34, v39
	v_fma_f16 v63, -0.5, v63, v9
	v_fmamk_f16 v74, v72, 0xbb9c, v63
	v_fmac_f16_e32 v63, 0x3b9c, v72
	v_fmac_f16_e32 v74, 0xb8b4, v73
	v_fmac_f16_e32 v63, 0x38b4, v73
	v_fmac_f16_e32 v74, 0x34f2, v10
	v_fmac_f16_e32 v63, 0x34f2, v10
	v_mul_f16_e32 v10, 0xb8b4, v50
	v_add_f16_e32 v83, v74, v57
	v_fmac_f16_e32 v10, 0xba79, v49
	v_pack_b32_f16 v83, v83, v88
	ds_write2_b32 v182, v62, v83 offset1:75
	v_add_f16_e32 v62, v31, v40
	v_sub_f16_e32 v31, v34, v31
	v_sub_f16_e32 v34, v39, v40
	;; [unrolled: 1-line block ×3, first 2 shown]
	v_add_f16_e32 v35, v35, v45
	v_fmac_f16_e32 v9, -0.5, v62
	v_sub_f16_e32 v39, v43, v36
	v_add_f16_e32 v31, v31, v34
	v_add_f16_e32 v36, v36, v8
	v_fmac_f16_e32 v30, -0.5, v35
	v_add_f16_e32 v35, v32, v38
	v_sub_f16_e32 v32, v33, v32
	v_sub_f16_e32 v33, v37, v38
	v_sub_f16_e32 v41, v42, v45
	v_fmac_f16_e32 v28, -0.5, v36
	v_fmac_f16_e32 v58, -0.5, v35
	v_fmamk_f16 v35, v73, 0x3b9c, v9
	v_fmac_f16_e32 v9, 0xbb9c, v73
	v_sub_f16_e32 v8, v44, v8
	v_add_f16_e32 v34, v40, v41
	v_add_f16_e32 v37, v63, v10
	v_fmac_f16_e32 v35, 0xb8b4, v72
	v_fmac_f16_e32 v9, 0x38b4, v72
	v_add_f16_e32 v8, v39, v8
	v_lshrrev_b32_e32 v40, 16, v12
	v_add_f16_e32 v42, v13, v21
	v_fmac_f16_e32 v35, 0x34f2, v31
	v_fmac_f16_e32 v9, 0x34f2, v31
	v_add_f16_e32 v31, v32, v33
	v_fmamk_f16 v32, v81, 0xbb9c, v58
	v_fmac_f16_e32 v58, 0x3b9c, v81
	v_fmamk_f16 v33, v55, 0x3b9c, v28
	v_fmac_f16_e32 v28, 0xbb9c, v55
	v_add_f16_e32 v41, v40, v15
	v_fmac_f16_e32 v32, 0x38b4, v80
	v_fmac_f16_e32 v58, 0xb8b4, v80
	;; [unrolled: 1-line block ×4, first 2 shown]
	v_add_f16_e32 v43, v14, v17
	v_fmac_f16_e32 v32, 0x34f2, v31
	v_fmac_f16_e32 v58, 0x34f2, v31
	v_fmamk_f16 v31, v52, 0xbb9c, v30
	v_fmac_f16_e32 v30, 0x3b9c, v52
	v_fmac_f16_e32 v28, 0x34f2, v8
	;; [unrolled: 1-line block ×3, first 2 shown]
	v_add_f16_e32 v41, v41, v16
	v_fmac_f16_e32 v31, 0x38b4, v51
	v_fmac_f16_e32 v30, 0xb8b4, v51
	v_add_f16_e32 v42, v42, v19
	v_add_f16_e32 v43, v43, v26
	;; [unrolled: 1-line block ×3, first 2 shown]
	v_fmac_f16_e32 v31, 0x34f2, v34
	v_fmac_f16_e32 v30, 0x34f2, v34
	v_add_f16_e32 v42, v42, v24
	v_add_f16_e32 v43, v43, v27
	;; [unrolled: 1-line block ×3, first 2 shown]
	v_mul_f16_e32 v8, 0xbb9c, v31
	v_mul_f16_e32 v31, 0x34f2, v31
	v_sub_f16_e32 v51, v18, v23
	v_fmac_f16_e32 v8, 0x34f2, v33
	v_fmac_f16_e32 v31, 0x3b9c, v33
	v_mul_f16_e32 v33, 0xbb9c, v30
	v_mul_f16_e32 v30, 0xb4f2, v30
	v_add_f16_e32 v34, v32, v31
	v_fmac_f16_e32 v33, 0xb4f2, v28
	v_fmac_f16_e32 v30, 0x3b9c, v28
	v_add_f16_e32 v28, v35, v8
	v_sub_f16_e32 v8, v35, v8
	v_sub_f16_e32 v35, v82, v53
	;; [unrolled: 1-line block ×3, first 2 shown]
	v_add_f16_e32 v36, v58, v30
	v_pack_b32_f16 v28, v28, v34
	v_add_f16_e32 v34, v9, v33
	v_pack_b32_f16 v8, v8, v31
	v_pack_b32_f16 v34, v34, v36
	v_sub_f16_e32 v36, v59, v61
	ds_write2_b32 v182, v28, v34 offset0:150 offset1:225
	v_mul_f16_e32 v28, 0xba79, v50
	v_sub_f16_e32 v34, v56, v60
	v_sub_f16_e32 v50, v20, v29
	v_fmac_f16_e32 v28, 0x38b4, v49
	v_pack_b32_f16 v34, v34, v36
	v_add_f16_e32 v49, v16, v22
	v_add_f16_e32 v38, v75, v28
	v_sub_f16_e32 v28, v75, v28
	v_fma_f16 v49, -0.5, v49, v40
	v_pack_b32_f16 v37, v37, v38
	v_fmamk_f16 v52, v50, 0x3b9c, v49
	v_fmac_f16_e32 v49, 0xbb9c, v50
	ds_write2_b32 v185, v37, v34 offset0:44 offset1:119
	v_sub_f16_e32 v34, v74, v57
	v_sub_f16_e32 v37, v26, v27
	v_fmac_f16_e32 v52, 0x38b4, v51
	v_fmac_f16_e32 v49, 0xb8b4, v51
	v_pack_b32_f16 v32, v34, v35
	v_sub_f16_e32 v34, v19, v24
	ds_write2_b32 v186, v32, v8 offset0:66 offset1:141
	v_sub_f16_e32 v8, v9, v33
	v_sub_f16_e32 v9, v63, v10
	;; [unrolled: 1-line block ×3, first 2 shown]
	v_add_f16_e32 v32, v26, v27
	v_pack_b32_f16 v9, v9, v28
	v_pack_b32_f16 v8, v8, v10
	v_mul_f16_sdwa v10, v151, v11 dst_sel:DWORD dst_unused:UNUSED_PAD src0_sel:WORD_1 src1_sel:DWORD
	v_sub_f16_e32 v28, v25, v22
	v_fma_f16 v32, -0.5, v32, v14
	ds_write2_b32 v187, v8, v9 offset0:88 offset1:163
	v_lshrrev_b32_e32 v8, 16, v11
	v_mul_f16_sdwa v9, v151, v8 dst_sel:DWORD dst_unused:UNUSED_PAD src0_sel:WORD_1 src1_sel:DWORD
	v_fma_f16 v8, v151, v8, -v10
	v_sub_f16_e32 v10, v20, v18
	v_fmac_f16_e32 v9, v151, v11
	v_sub_f16_e32 v11, v29, v23
	v_sub_f16_e32 v31, v8, v27
	;; [unrolled: 1-line block ×3, first 2 shown]
	v_add_f16_e32 v43, v43, v8
	v_sub_f16_e32 v30, v9, v24
	v_add_f16_e32 v10, v10, v11
	v_sub_f16_e32 v11, v15, v16
	v_sub_f16_e32 v33, v21, v9
	v_add_f16_e32 v42, v42, v9
	v_add_f16_e32 v45, v41, v43
	;; [unrolled: 1-line block ×3, first 2 shown]
	v_sub_f16_e32 v28, v21, v19
	v_fmamk_f16 v35, v33, 0x3b9c, v32
	v_fmac_f16_e32 v32, 0xbb9c, v33
	v_fmac_f16_e32 v52, 0x34f2, v11
	v_add_f16_e32 v28, v28, v30
	v_sub_f16_e32 v30, v17, v26
	v_fmac_f16_e32 v35, 0x38b4, v34
	v_fmac_f16_e32 v32, 0xb8b4, v34
	;; [unrolled: 1-line block ×3, first 2 shown]
	v_add_f16_e32 v30, v30, v31
	v_add_f16_e32 v31, v19, v24
	v_sub_f16_e32 v19, v19, v21
	v_add_f16_e32 v21, v21, v9
	v_sub_f16_e32 v9, v24, v9
	v_fmac_f16_e32 v35, 0x34f2, v30
	v_fma_f16 v31, -0.5, v31, v13
	v_fmac_f16_e32 v32, 0x34f2, v30
	v_fmac_f16_e32 v13, -0.5, v21
	v_add_f16_e32 v9, v19, v9
	v_mul_f16_e32 v39, 0xb8b4, v35
	v_fmamk_f16 v38, v36, 0xbb9c, v31
	v_mul_f16_e32 v35, 0x3a79, v35
	v_fmac_f16_e32 v31, 0x3b9c, v36
	v_mul_f16_e32 v11, 0xba79, v32
	v_fmac_f16_e32 v38, 0xb8b4, v37
	v_fmac_f16_e32 v31, 0x38b4, v37
	;; [unrolled: 1-line block ×6, first 2 shown]
	v_add_f16_e32 v38, v12, v20
	v_fmac_f16_e32 v11, 0x38b4, v31
	v_add_f16_e32 v54, v52, v35
	v_add_f16_e32 v38, v38, v18
	;; [unrolled: 1-line block ×5, first 2 shown]
	v_pack_b32_f16 v44, v44, v45
	v_add_f16_e32 v45, v18, v23
	v_sub_f16_e32 v18, v18, v20
	v_fma_f16 v45, -0.5, v45, v12
	v_fmamk_f16 v48, v46, 0xbb9c, v45
	v_fmac_f16_e32 v45, 0x3b9c, v46
	v_fmac_f16_e32 v48, 0xb8b4, v47
	;; [unrolled: 1-line block ×5, first 2 shown]
	v_mul_f16_e32 v10, 0xb8b4, v32
	v_add_f16_e32 v53, v48, v39
	v_fmac_f16_e32 v10, 0xba79, v31
	v_pack_b32_f16 v53, v53, v54
	ds_write2_b32 v177, v44, v53 offset1:75
	v_add_f16_e32 v44, v20, v29
	v_sub_f16_e32 v20, v23, v29
	v_sub_f16_e32 v23, v26, v17
	v_add_f16_e32 v17, v17, v8
	v_sub_f16_e32 v8, v27, v8
	v_fmac_f16_e32 v12, -0.5, v44
	v_add_f16_e32 v18, v18, v20
	v_add_f16_e32 v20, v49, v11
	v_fmac_f16_e32 v14, -0.5, v17
	v_add_f16_e32 v17, v15, v25
	v_sub_f16_e32 v15, v16, v15
	v_sub_f16_e32 v16, v22, v25
	v_add_f16_e32 v8, v23, v8
	v_sub_f16_e32 v11, v49, v11
	v_fmac_f16_e32 v40, -0.5, v17
	v_fmamk_f16 v17, v47, 0x3b9c, v12
	v_add_f16_e32 v15, v15, v16
	v_fmac_f16_e32 v12, 0xbb9c, v47
	v_fmamk_f16 v16, v51, 0xbb9c, v40
	v_fmac_f16_e32 v40, 0x3b9c, v51
	v_fmac_f16_e32 v17, 0xb8b4, v46
	;; [unrolled: 1-line block ×9, first 2 shown]
	v_fmamk_f16 v15, v34, 0xbb9c, v14
	v_fmac_f16_e32 v14, 0x3b9c, v34
	v_fmac_f16_e32 v15, 0x38b4, v33
	;; [unrolled: 1-line block ×5, first 2 shown]
	v_fmamk_f16 v8, v37, 0x3b9c, v13
	v_fmac_f16_e32 v13, 0xbb9c, v37
	v_fmac_f16_e32 v8, 0xb8b4, v36
	;; [unrolled: 1-line block ×5, first 2 shown]
	v_mul_f16_e32 v9, 0xbb9c, v15
	v_mul_f16_e32 v15, 0x34f2, v15
	v_fmac_f16_e32 v9, 0x34f2, v8
	v_fmac_f16_e32 v15, 0x3b9c, v8
	v_mul_f16_e32 v8, 0xbb9c, v14
	v_mul_f16_e32 v14, 0xb4f2, v14
	v_add_f16_e32 v18, v16, v15
	v_fmac_f16_e32 v8, 0xb4f2, v13
	v_fmac_f16_e32 v14, 0x3b9c, v13
	v_add_f16_e32 v13, v17, v9
	v_sub_f16_e32 v9, v17, v9
	v_sub_f16_e32 v17, v52, v35
	;; [unrolled: 1-line block ×3, first 2 shown]
	v_add_f16_e32 v19, v40, v14
	v_pack_b32_f16 v13, v13, v18
	v_add_f16_e32 v18, v12, v8
	v_sub_f16_e32 v8, v12, v8
	v_pack_b32_f16 v9, v9, v15
	v_pack_b32_f16 v18, v18, v19
	v_add_f16_e32 v19, v45, v10
	ds_write2_b32 v177, v13, v18 offset0:150 offset1:225
	v_sub_f16_e32 v13, v38, v42
	v_sub_f16_e32 v18, v41, v43
	v_pack_b32_f16 v19, v19, v20
	v_pack_b32_f16 v13, v13, v18
	ds_write2_b32 v179, v19, v13 offset0:44 offset1:119
	v_sub_f16_e32 v13, v48, v39
	v_pack_b32_f16 v13, v13, v17
	ds_write2_b32 v180, v13, v9 offset0:66 offset1:141
	v_sub_f16_e32 v9, v45, v10
	v_sub_f16_e32 v10, v40, v14
	v_pack_b32_f16 v9, v9, v11
	v_pack_b32_f16 v8, v8, v10
	ds_write2_b32 v181, v8, v9 offset0:88 offset1:163
	s_waitcnt lgkmcnt(0)
	s_barrier
	buffer_gl0_inv
	ds_read2_b32 v[8:9], v128 offset0:110 offset1:235
	ds_read2_b32 v[42:43], v120 offset0:44 offset1:169
	s_waitcnt lgkmcnt(1)
	v_lshrrev_b32_e32 v10, 16, v8
	v_mul_f16_sdwa v11, v4, v8 dst_sel:DWORD dst_unused:UNUSED_PAD src0_sel:WORD_1 src1_sel:DWORD
	s_waitcnt lgkmcnt(0)
	v_lshrrev_b32_e32 v45, 16, v43
	v_mul_f16_sdwa v47, v4, v10 dst_sel:DWORD dst_unused:UNUSED_PAD src0_sel:WORD_1 src1_sel:DWORD
	v_fma_f16 v48, v4, v10, -v11
	ds_read2_b32 v[10:11], v211 offset0:92 offset1:217
	v_fmac_f16_e32 v47, v4, v8
	v_lshrrev_b32_e32 v4, 16, v9
	v_mul_f16_sdwa v21, v0, v4 dst_sel:DWORD dst_unused:UNUSED_PAD src0_sel:WORD_1 src1_sel:DWORD
	v_fmac_f16_e32 v21, v0, v9
	s_waitcnt lgkmcnt(0)
	v_lshrrev_b32_e32 v12, 16, v10
	v_mul_f16_sdwa v13, v5, v10 dst_sel:DWORD dst_unused:UNUSED_PAD src0_sel:WORD_1 src1_sel:DWORD
	v_mul_f16_sdwa v50, v5, v12 dst_sel:DWORD dst_unused:UNUSED_PAD src0_sel:WORD_1 src1_sel:DWORD
	v_fma_f16 v49, v5, v12, -v13
	ds_read2_b32 v[12:13], v123 offset0:74 offset1:199
	v_fmac_f16_e32 v50, v5, v10
	v_mul_f16_sdwa v5, v0, v9 dst_sel:DWORD dst_unused:UNUSED_PAD src0_sel:WORD_1 src1_sel:DWORD
	v_fma_f16 v37, v0, v4, -v5
	s_waitcnt lgkmcnt(0)
	v_lshrrev_b32_e32 v14, 16, v12
	v_mul_f16_sdwa v15, v6, v12 dst_sel:DWORD dst_unused:UNUSED_PAD src0_sel:WORD_1 src1_sel:DWORD
	v_lshrrev_b32_e32 v8, 16, v13
	v_mul_f16_sdwa v9, v2, v13 dst_sel:DWORD dst_unused:UNUSED_PAD src0_sel:WORD_1 src1_sel:DWORD
	v_mul_f16_sdwa v52, v6, v14 dst_sel:DWORD dst_unused:UNUSED_PAD src0_sel:WORD_1 src1_sel:DWORD
	v_fma_f16 v51, v6, v14, -v15
	ds_read2_b32 v[14:15], v209 offset0:56 offset1:181
	v_mul_f16_sdwa v31, v2, v8 dst_sel:DWORD dst_unused:UNUSED_PAD src0_sel:WORD_1 src1_sel:DWORD
	v_fma_f16 v38, v2, v8, -v9
	v_fmac_f16_e32 v52, v6, v12
	v_lshrrev_b32_e32 v6, 16, v11
	v_sub_f16_e32 v46, v49, v51
	v_fmac_f16_e32 v31, v2, v13
	ds_read2_b32 v[12:13], v127 offset0:62 offset1:187
	v_mul_f16_sdwa v27, v1, v6 dst_sel:DWORD dst_unused:UNUSED_PAD src0_sel:WORD_1 src1_sel:DWORD
	v_fmac_f16_e32 v27, v1, v11
	s_waitcnt lgkmcnt(1)
	v_lshrrev_b32_e32 v16, 16, v14
	v_mul_f16_sdwa v17, v7, v14 dst_sel:DWORD dst_unused:UNUSED_PAD src0_sel:WORD_1 src1_sel:DWORD
	v_lshrrev_b32_e32 v10, 16, v15
	v_mul_f16_sdwa v54, v7, v16 dst_sel:DWORD dst_unused:UNUSED_PAD src0_sel:WORD_1 src1_sel:DWORD
	v_fma_f16 v53, v7, v16, -v17
	v_mul_f16_sdwa v36, v3, v10 dst_sel:DWORD dst_unused:UNUSED_PAD src0_sel:WORD_1 src1_sel:DWORD
	s_waitcnt lgkmcnt(0)
	v_mul_f16_sdwa v44, v78, v13 dst_sel:DWORD dst_unused:UNUSED_PAD src0_sel:WORD_1 src1_sel:DWORD
	v_fmac_f16_e32 v54, v7, v14
	v_mul_f16_sdwa v7, v1, v11 dst_sel:DWORD dst_unused:UNUSED_PAD src0_sel:WORD_1 src1_sel:DWORD
	v_mul_f16_sdwa v11, v3, v15 dst_sel:DWORD dst_unused:UNUSED_PAD src0_sel:WORD_1 src1_sel:DWORD
	v_fmac_f16_e32 v36, v3, v15
	v_mul_f16_sdwa v15, v79, v45 dst_sel:DWORD dst_unused:UNUSED_PAD src0_sel:WORD_1 src1_sel:DWORD
	v_sub_f16_e32 v57, v48, v53
	v_fma_f16 v39, v1, v6, -v7
	ds_read2_b32 v[0:1], v125 offset0:104 offset1:229
	v_fma_f16 v40, v3, v10, -v11
	v_mul_f16_sdwa v11, v87, v42 dst_sel:DWORD dst_unused:UNUSED_PAD src0_sel:WORD_1 src1_sel:DWORD
	v_fmac_f16_e32 v15, v79, v43
	v_mul_f16_sdwa v43, v79, v43 dst_sel:DWORD dst_unused:UNUSED_PAD src0_sel:WORD_1 src1_sel:DWORD
	s_waitcnt lgkmcnt(0)
	v_lshrrev_b32_e32 v2, 16, v0
	v_mul_f16_sdwa v3, v68, v0 dst_sel:DWORD dst_unused:UNUSED_PAD src0_sel:WORD_1 src1_sel:DWORD
	v_mul_f16_sdwa v20, v68, v2 dst_sel:DWORD dst_unused:UNUSED_PAD src0_sel:WORD_1 src1_sel:DWORD
	v_fma_f16 v41, v68, v2, -v3
	ds_read2_b32 v[2:3], v210 offset0:86 offset1:211
	v_fmac_f16_e32 v20, v68, v0
	v_lshrrev_b32_e32 v0, 16, v1
	v_mul_f16_sdwa v18, v64, v0 dst_sel:DWORD dst_unused:UNUSED_PAD src0_sel:WORD_1 src1_sel:DWORD
	v_fmac_f16_e32 v18, v64, v1
	v_mul_f16_sdwa v1, v64, v1 dst_sel:DWORD dst_unused:UNUSED_PAD src0_sel:WORD_1 src1_sel:DWORD
	s_waitcnt lgkmcnt(0)
	v_lshrrev_b32_e32 v4, 16, v2
	v_mul_f16_sdwa v5, v69, v2 dst_sel:DWORD dst_unused:UNUSED_PAD src0_sel:WORD_1 src1_sel:DWORD
	v_fma_f16 v30, v64, v0, -v1
	ds_read2_b32 v[0:1], v146 offset0:98 offset1:223
	v_mul_f16_sdwa v24, v69, v4 dst_sel:DWORD dst_unused:UNUSED_PAD src0_sel:WORD_1 src1_sel:DWORD
	v_fma_f16 v22, v69, v4, -v5
	ds_read2_b32 v[4:5], v135 offset0:68 offset1:193
	v_fmac_f16_e32 v24, v69, v2
	v_lshrrev_b32_e32 v2, 16, v3
	v_mul_f16_sdwa v19, v65, v2 dst_sel:DWORD dst_unused:UNUSED_PAD src0_sel:WORD_1 src1_sel:DWORD
	v_fmac_f16_e32 v19, v65, v3
	v_mul_f16_sdwa v3, v65, v3 dst_sel:DWORD dst_unused:UNUSED_PAD src0_sel:WORD_1 src1_sel:DWORD
	s_waitcnt lgkmcnt(0)
	v_lshrrev_b32_e32 v6, 16, v4
	v_mul_f16_sdwa v7, v70, v4 dst_sel:DWORD dst_unused:UNUSED_PAD src0_sel:WORD_1 src1_sel:DWORD
	v_fma_f16 v33, v65, v2, -v3
	v_lshrrev_b32_e32 v2, 16, v0
	v_mul_f16_sdwa v3, v84, v0 dst_sel:DWORD dst_unused:UNUSED_PAD src0_sel:WORD_1 src1_sel:DWORD
	v_mul_f16_sdwa v28, v70, v6 dst_sel:DWORD dst_unused:UNUSED_PAD src0_sel:WORD_1 src1_sel:DWORD
	v_fma_f16 v25, v70, v6, -v7
	ds_read2_b32 v[6:7], v193 offset0:50 offset1:175
	v_fma_f16 v3, v84, v2, -v3
	v_fmac_f16_e32 v28, v70, v4
	v_lshrrev_b32_e32 v4, 16, v5
	v_add_f16_e32 v62, v22, v25
	v_sub_f16_e32 v60, v22, v25
	v_sub_f16_e32 v65, v24, v28
	v_mul_f16_sdwa v23, v66, v4 dst_sel:DWORD dst_unused:UNUSED_PAD src0_sel:WORD_1 src1_sel:DWORD
	v_fmac_f16_e32 v23, v66, v5
	v_mul_f16_sdwa v5, v66, v5 dst_sel:DWORD dst_unused:UNUSED_PAD src0_sel:WORD_1 src1_sel:DWORD
	s_waitcnt lgkmcnt(0)
	v_lshrrev_b32_e32 v8, 16, v6
	v_mul_f16_sdwa v9, v71, v6 dst_sel:DWORD dst_unused:UNUSED_PAD src0_sel:WORD_1 src1_sel:DWORD
	v_fma_f16 v34, v66, v4, -v5
	v_mul_f16_sdwa v4, v84, v2 dst_sel:DWORD dst_unused:UNUSED_PAD src0_sel:WORD_1 src1_sel:DWORD
	v_mul_f16_sdwa v32, v71, v8 dst_sel:DWORD dst_unused:UNUSED_PAD src0_sel:WORD_1 src1_sel:DWORD
	v_fma_f16 v29, v71, v8, -v9
	v_mul_f16_sdwa v9, v86, v12 dst_sel:DWORD dst_unused:UNUSED_PAD src0_sel:WORD_1 src1_sel:DWORD
	v_fmac_f16_e32 v4, v84, v0
	v_lshrrev_b32_e32 v0, 16, v1
	v_fmac_f16_e32 v32, v71, v6
	v_lshrrev_b32_e32 v6, 16, v7
	v_sub_f16_e32 v58, v41, v29
	v_sub_f16_e32 v63, v20, v32
	v_mul_f16_sdwa v26, v67, v6 dst_sel:DWORD dst_unused:UNUSED_PAD src0_sel:WORD_1 src1_sel:DWORD
	v_fmac_f16_e32 v26, v67, v7
	v_mul_f16_sdwa v7, v67, v7 dst_sel:DWORD dst_unused:UNUSED_PAD src0_sel:WORD_1 src1_sel:DWORD
	v_fma_f16 v35, v67, v6, -v7
	ds_read2_b32 v[5:6], v139 offset0:80 offset1:205
	s_waitcnt lgkmcnt(0)
	v_lshrrev_b32_e32 v2, 16, v5
	v_mul_f16_sdwa v7, v85, v5 dst_sel:DWORD dst_unused:UNUSED_PAD src0_sel:WORD_1 src1_sel:DWORD
	v_lshrrev_b32_e32 v14, 16, v6
	v_mul_f16_sdwa v17, v77, v6 dst_sel:DWORD dst_unused:UNUSED_PAD src0_sel:WORD_1 src1_sel:DWORD
	v_mul_f16_sdwa v8, v85, v2 dst_sel:DWORD dst_unused:UNUSED_PAD src0_sel:WORD_1 src1_sel:DWORD
	v_fma_f16 v7, v85, v2, -v7
	v_lshrrev_b32_e32 v2, 16, v12
	v_fmac_f16_e32 v8, v85, v5
	v_mul_f16_sdwa v5, v77, v14 dst_sel:DWORD dst_unused:UNUSED_PAD src0_sel:WORD_1 src1_sel:DWORD
	v_fma_f16 v9, v86, v2, -v9
	v_mul_f16_sdwa v10, v86, v2 dst_sel:DWORD dst_unused:UNUSED_PAD src0_sel:WORD_1 src1_sel:DWORD
	v_lshrrev_b32_e32 v2, 16, v42
	v_fmac_f16_e32 v5, v77, v6
	v_fmac_f16_e32 v10, v86, v12
	v_fma_f16 v11, v87, v2, -v11
	v_mul_f16_sdwa v16, v87, v2 dst_sel:DWORD dst_unused:UNUSED_PAD src0_sel:WORD_1 src1_sel:DWORD
	v_mul_f16_sdwa v2, v76, v0 dst_sel:DWORD dst_unused:UNUSED_PAD src0_sel:WORD_1 src1_sel:DWORD
	v_fmac_f16_e32 v16, v87, v42
	v_fmac_f16_e32 v2, v76, v1
	v_mul_f16_sdwa v1, v76, v1 dst_sel:DWORD dst_unused:UNUSED_PAD src0_sel:WORD_1 src1_sel:DWORD
	v_lshrrev_b32_e32 v42, 16, v13
	v_fma_f16 v12, v76, v0, -v1
	v_sub_f16_e32 v0, v47, v50
	v_sub_f16_e32 v1, v54, v52
	v_mul_f16_sdwa v6, v78, v42 dst_sel:DWORD dst_unused:UNUSED_PAD src0_sel:WORD_1 src1_sel:DWORD
	v_add_f16_e32 v55, v0, v1
	v_sub_f16_e32 v0, v50, v47
	v_sub_f16_e32 v1, v52, v54
	v_fmac_f16_e32 v6, v78, v13
	v_fma_f16 v13, v77, v14, -v17
	v_fma_f16 v14, v78, v42, -v44
	v_add_f16_e32 v42, v50, v52
	v_add_f16_e32 v56, v0, v1
	ds_read2_b32 v[0:1], v144 offset1:125
	v_fma_f16 v17, v79, v45, -v43
	v_add_f16_e32 v43, v47, v54
	s_waitcnt lgkmcnt(0)
	v_fma_f16 v42, -0.5, v42, v0
	v_fma_f16 v43, -0.5, v43, v0
	v_fmamk_f16 v44, v57, 0xbb9c, v42
	v_fmac_f16_e32 v42, 0x3b9c, v57
	v_fmamk_f16 v45, v46, 0x3b9c, v43
	v_fmac_f16_e32 v43, 0xbb9c, v46
	v_fmac_f16_e32 v44, 0xb8b4, v46
	;; [unrolled: 1-line block ×3, first 2 shown]
	v_add_f16_e32 v46, v0, v47
	v_fmac_f16_e32 v45, 0xb8b4, v57
	v_fmac_f16_e32 v43, 0x38b4, v57
	;; [unrolled: 1-line block ×4, first 2 shown]
	v_add_f16_e32 v46, v46, v50
	v_fmac_f16_e32 v45, 0x34f2, v56
	v_fmac_f16_e32 v43, 0x34f2, v56
	v_sub_f16_e32 v57, v27, v31
	v_add_f16_e32 v46, v46, v52
	v_sub_f16_e32 v52, v50, v52
	v_add_f16_e32 v50, v48, v53
	v_add_f16_e32 v46, v46, v54
	v_sub_f16_e32 v54, v47, v54
	v_lshrrev_b32_e32 v47, 16, v0
	v_add_f16_e32 v0, v49, v51
	v_add_f16_e32 v55, v47, v48
	v_fma_f16 v0, -0.5, v0, v47
	v_fmac_f16_e32 v47, -0.5, v50
	v_add_f16_e32 v50, v55, v49
	v_sub_f16_e32 v55, v48, v49
	v_sub_f16_e32 v49, v49, v48
	v_add_f16_e32 v48, v50, v51
	v_sub_f16_e32 v50, v53, v51
	v_sub_f16_e32 v51, v51, v53
	v_add_f16_e32 v48, v48, v53
	v_add_f16_e32 v53, v55, v50
	;; [unrolled: 1-line block ×3, first 2 shown]
	v_fmamk_f16 v49, v52, 0xbb9c, v47
	v_fmac_f16_e32 v47, 0x3b9c, v52
	v_fmamk_f16 v50, v54, 0x3b9c, v0
	v_fmac_f16_e32 v0, 0xbb9c, v54
	v_pack_b32_f16 v46, v46, v48
	v_fmac_f16_e32 v49, 0x38b4, v54
	v_fmac_f16_e32 v47, 0xb8b4, v54
	;; [unrolled: 1-line block ×4, first 2 shown]
	v_add_f16_e32 v54, v39, v38
	v_fmac_f16_e32 v49, 0x34f2, v51
	v_fmac_f16_e32 v47, 0x34f2, v51
	;; [unrolled: 1-line block ×4, first 2 shown]
	v_sub_f16_e32 v53, v39, v38
	v_pack_b32_f16 v48, v45, v49
	v_lshrrev_b32_e32 v49, 16, v1
	v_pack_b32_f16 v47, v43, v47
	v_pack_b32_f16 v0, v42, v0
	v_add_f16_e32 v42, v1, v21
	v_pack_b32_f16 v44, v44, v50
	v_add_f16_e32 v43, v49, v37
	v_sub_f16_e32 v55, v21, v36
	v_sub_f16_e32 v51, v37, v40
	v_add_f16_e32 v42, v42, v27
	ds_write_b32 v144, v44 offset:3000
	v_add_f16_e32 v43, v43, v39
	v_fma_f16 v54, -0.5, v54, v49
	v_add_f16_e32 v42, v42, v31
	v_add_f16_e32 v43, v43, v38
	v_fmamk_f16 v56, v55, 0x3b9c, v54
	v_fmac_f16_e32 v54, 0xbb9c, v55
	v_add_f16_e32 v42, v42, v36
	v_add_f16_e32 v43, v43, v40
	v_fmac_f16_e32 v56, 0x38b4, v57
	v_fmac_f16_e32 v54, 0xb8b4, v57
	v_pack_b32_f16 v50, v42, v43
	ds_read2_b32 v[42:43], v137 offset0:122 offset1:247
	ds_read2_b32 v[44:45], v124 offset0:116 offset1:241
	ds_write_b32 v144, v48 offset:6000
	ds_write_b32 v144, v47 offset:9000
	;; [unrolled: 1-line block ×3, first 2 shown]
	ds_write2_b32 v144, v46, v50 offset1:125
	v_sub_f16_e32 v0, v21, v27
	v_sub_f16_e32 v46, v36, v31
	v_sub_f16_e32 v47, v40, v38
	v_sub_f16_e32 v48, v32, v28
	v_sub_f16_e32 v50, v29, v25
	v_sub_f16_e32 v38, v38, v40
	v_add_f16_e32 v0, v0, v46
	v_sub_f16_e32 v46, v37, v39
	v_add_f16_e32 v46, v46, v47
	v_sub_f16_e32 v47, v20, v24
	s_waitcnt lgkmcnt(5)
	v_lshrrev_b32_e32 v61, 16, v42
	v_add_f16_e32 v47, v47, v48
	v_sub_f16_e32 v48, v41, v22
	v_fmac_f16_e32 v56, 0x34f2, v46
	v_fmac_f16_e32 v54, 0x34f2, v46
	v_fma_f16 v62, -0.5, v62, v61
	v_add_f16_e32 v48, v48, v50
	v_add_f16_e32 v50, v27, v31
	v_sub_f16_e32 v27, v27, v21
	v_add_f16_e32 v21, v21, v36
	v_sub_f16_e32 v31, v31, v36
	v_sub_f16_e32 v36, v39, v37
	v_fma_f16 v50, -0.5, v50, v1
	v_add_f16_e32 v37, v37, v40
	v_fmac_f16_e32 v1, -0.5, v21
	v_add_f16_e32 v21, v27, v31
	v_add_f16_e32 v27, v36, v38
	v_sub_f16_e32 v31, v24, v20
	v_sub_f16_e32 v36, v28, v32
	v_fmac_f16_e32 v49, -0.5, v37
	v_add_f16_e32 v37, v61, v41
	v_sub_f16_e32 v38, v25, v29
	v_fmamk_f16 v52, v51, 0xbb9c, v50
	v_add_f16_e32 v31, v31, v36
	v_add_f16_e32 v36, v41, v29
	v_fmamk_f16 v39, v57, 0xbb9c, v49
	v_fmac_f16_e32 v49, 0x3b9c, v57
	v_fmac_f16_e32 v52, 0xb8b4, v53
	v_fmamk_f16 v64, v63, 0x3b9c, v62
	v_fmac_f16_e32 v61, -0.5, v36
	v_sub_f16_e32 v36, v22, v41
	v_fmac_f16_e32 v39, 0x38b4, v55
	v_fmac_f16_e32 v52, 0x34f2, v0
	;; [unrolled: 1-line block ×3, first 2 shown]
	v_fmamk_f16 v41, v65, 0xbb9c, v61
	v_add_f16_e32 v36, v36, v38
	v_fmamk_f16 v38, v53, 0x3b9c, v1
	v_fmac_f16_e32 v39, 0x34f2, v27
	v_pack_b32_f16 v52, v52, v56
	v_add_f16_e32 v56, v24, v28
	v_fmac_f16_e32 v1, 0xbb9c, v53
	v_fmac_f16_e32 v38, 0xb8b4, v51
	;; [unrolled: 1-line block ×4, first 2 shown]
	v_fma_f16 v56, -0.5, v56, v42
	v_fmac_f16_e32 v1, 0x38b4, v51
	v_fmac_f16_e32 v38, 0x34f2, v21
	;; [unrolled: 1-line block ×4, first 2 shown]
	v_fmamk_f16 v59, v58, 0xbb9c, v56
	v_fmac_f16_e32 v56, 0x3b9c, v58
	v_pack_b32_f16 v38, v38, v39
	v_add_f16_e32 v39, v20, v32
	v_fmac_f16_e32 v1, 0x34f2, v21
	v_fmac_f16_e32 v49, 0x34f2, v27
	;; [unrolled: 1-line block ×4, first 2 shown]
	v_fma_f16 v39, -0.5, v39, v42
	v_fmac_f16_e32 v56, 0x38b4, v60
	v_fmac_f16_e32 v62, 0xb8b4, v65
	v_pack_b32_f16 v1, v1, v49
	v_fmac_f16_e32 v50, 0x34f2, v0
	v_fmamk_f16 v40, v60, 0x3b9c, v39
	v_fmac_f16_e32 v39, 0xbb9c, v60
	v_fmac_f16_e32 v56, 0x34f2, v47
	;; [unrolled: 1-line block ×3, first 2 shown]
	v_pack_b32_f16 v0, v50, v54
	v_fmac_f16_e32 v59, 0xb8b4, v60
	v_fmac_f16_e32 v39, 0x38b4, v58
	;; [unrolled: 1-line block ×10, first 2 shown]
	v_sub_f16_e32 v31, v18, v26
	v_pack_b32_f16 v21, v39, v61
	v_pack_b32_f16 v59, v59, v64
	v_sub_f16_e32 v27, v30, v35
	v_pack_b32_f16 v40, v40, v41
	s_waitcnt lgkmcnt(4)
	v_add_f16_e32 v39, v44, v4
	ds_write2_b32 v173, v1, v21 offset0:71 offset1:196
	v_pack_b32_f16 v1, v56, v62
	ds_write2_b32 v174, v52, v59 offset0:107 offset1:232
	ds_write2_b32 v213, v38, v40 offset0:89 offset1:214
	v_add_f16_e32 v38, v4, v16
	v_add_f16_e32 v39, v39, v8
	ds_write2_b32 v214, v0, v1 offset0:53 offset1:178
	v_add_f16_e32 v0, v42, v20
	v_add_f16_e32 v1, v37, v22
	v_lshrrev_b32_e32 v20, 16, v43
	v_add_f16_e32 v22, v30, v35
	v_fma_f16 v38, -0.5, v38, v44
	v_add_f16_e32 v0, v0, v24
	v_add_f16_e32 v1, v1, v25
	;; [unrolled: 1-line block ×3, first 2 shown]
	v_sub_f16_e32 v24, v34, v35
	v_sub_f16_e32 v37, v2, v15
	v_add_f16_e32 v0, v0, v28
	v_add_f16_e32 v1, v1, v29
	;; [unrolled: 1-line block ×3, first 2 shown]
	v_sub_f16_e32 v28, v19, v23
	v_add_f16_e32 v39, v39, v10
	v_add_f16_e32 v0, v0, v32
	v_sub_f16_e32 v32, v14, v17
	v_add_f16_e32 v21, v21, v34
	v_add_f16_e32 v39, v39, v16
	v_pack_b32_f16 v0, v0, v1
	v_add_f16_e32 v1, v43, v18
	v_add_f16_e32 v21, v21, v35
	;; [unrolled: 1-line block ×5, first 2 shown]
	v_pack_b32_f16 v1, v1, v21
	v_sub_f16_e32 v21, v23, v26
	ds_write2_b32 v137, v0, v1 offset0:122 offset1:247
	v_add_f16_e32 v0, v19, v23
	v_add_f16_e32 v1, v18, v26
	v_fma_f16 v0, -0.5, v0, v43
	v_fmac_f16_e32 v43, -0.5, v1
	v_sub_f16_e32 v1, v19, v18
	v_sub_f16_e32 v18, v18, v19
	;; [unrolled: 1-line block ×4, first 2 shown]
	v_fmamk_f16 v26, v27, 0xbb9c, v0
	v_add_f16_e32 v1, v1, v21
	v_add_f16_e32 v21, v33, v34
	;; [unrolled: 1-line block ×3, first 2 shown]
	v_sub_f16_e32 v19, v30, v33
	v_fmac_f16_e32 v0, 0x3b9c, v27
	v_sub_f16_e32 v35, v5, v6
	v_fma_f16 v21, -0.5, v21, v20
	v_fmac_f16_e32 v20, -0.5, v22
	v_sub_f16_e32 v22, v33, v30
	v_add_f16_e32 v19, v19, v23
	v_sub_f16_e32 v30, v8, v10
	v_fmamk_f16 v23, v31, 0x3b9c, v21
	v_fmamk_f16 v29, v28, 0xbb9c, v20
	v_add_f16_e32 v22, v22, v24
	v_sub_f16_e32 v24, v33, v34
	v_fmac_f16_e32 v20, 0x3b9c, v28
	v_fmac_f16_e32 v21, 0xbb9c, v31
	;; [unrolled: 1-line block ×4, first 2 shown]
	v_fmamk_f16 v25, v24, 0x3b9c, v43
	v_fmac_f16_e32 v43, 0xbb9c, v24
	v_fmac_f16_e32 v26, 0xb8b4, v24
	;; [unrolled: 1-line block ×15, first 2 shown]
	v_sub_f16_e32 v1, v4, v8
	v_sub_f16_e32 v18, v16, v10
	v_add_f16_e32 v22, v8, v10
	v_pack_b32_f16 v23, v26, v23
	v_lshrrev_b32_e32 v26, 16, v44
	v_add_f16_e32 v27, v7, v9
	v_add_f16_e32 v1, v1, v18
	v_sub_f16_e32 v18, v3, v7
	v_sub_f16_e32 v19, v11, v9
	v_pack_b32_f16 v0, v0, v21
	v_fma_f16 v21, -0.5, v22, v44
	v_sub_f16_e32 v22, v3, v11
	v_fma_f16 v27, -0.5, v27, v26
	v_sub_f16_e32 v28, v4, v16
	v_add_f16_e32 v18, v18, v19
	v_pack_b32_f16 v19, v25, v29
	v_sub_f16_e32 v24, v7, v9
	v_fmamk_f16 v25, v22, 0xbb9c, v21
	v_fmamk_f16 v29, v28, 0x3b9c, v27
	v_pack_b32_f16 v20, v43, v20
	v_add_f16_e32 v40, v26, v3
	v_sub_f16_e32 v4, v8, v4
	v_fmac_f16_e32 v25, 0xb8b4, v24
	v_fmac_f16_e32 v29, 0x38b4, v30
	v_sub_f16_e32 v8, v10, v16
	v_add_f16_e32 v40, v40, v7
	v_sub_f16_e32 v7, v7, v3
	v_fmac_f16_e32 v25, 0x34f2, v1
	v_fmac_f16_e32 v29, 0x34f2, v18
	v_add_f16_e32 v3, v3, v11
	v_add_f16_e32 v40, v40, v9
	v_sub_f16_e32 v9, v9, v11
	v_add_f16_e32 v4, v4, v8
	v_pack_b32_f16 v25, v25, v29
	ds_write_b32 v144, v19 offset:7500
	ds_write_b32 v144, v20 offset:10500
	;; [unrolled: 1-line block ×3, first 2 shown]
	ds_write2_b32 v178, v23, v25 offset0:101 offset1:226
	v_add_f16_e32 v0, v5, v6
	v_add_f16_e32 v19, v2, v15
	v_lshrrev_b32_e32 v20, 16, v45
	v_add_f16_e32 v23, v45, v2
	v_sub_f16_e32 v25, v6, v15
	v_fma_f16 v0, -0.5, v0, v45
	v_fmac_f16_e32 v45, -0.5, v19
	v_sub_f16_e32 v19, v5, v2
	v_fmac_f16_e32 v26, -0.5, v3
	v_add_f16_e32 v29, v12, v17
	v_add_f16_e32 v3, v7, v9
	v_fmamk_f16 v7, v24, 0x3b9c, v38
	v_add_f16_e32 v19, v19, v25
	v_add_f16_e32 v25, v13, v14
	v_fmamk_f16 v8, v30, 0xbb9c, v26
	v_add_f16_e32 v31, v20, v12
	v_fmac_f16_e32 v21, 0x3b9c, v22
	v_fmac_f16_e32 v38, 0xbb9c, v24
	v_fma_f16 v25, -0.5, v25, v20
	v_fmac_f16_e32 v20, -0.5, v29
	v_sub_f16_e32 v29, v13, v12
	v_fmac_f16_e32 v7, 0xb8b4, v22
	v_fmac_f16_e32 v8, 0x38b4, v28
	v_sub_f16_e32 v34, v12, v17
	v_add_f16_e32 v10, v23, v5
	v_add_f16_e32 v29, v29, v32
	v_sub_f16_e32 v32, v13, v14
	v_fmac_f16_e32 v21, 0x38b4, v24
	v_fmac_f16_e32 v38, 0x38b4, v22
	;; [unrolled: 1-line block ×4, first 2 shown]
	v_add_f16_e32 v40, v40, v11
	v_add_f16_e32 v11, v31, v13
	v_fmamk_f16 v33, v32, 0x3b9c, v45
	v_fmamk_f16 v36, v35, 0xbb9c, v20
	v_add_f16_e32 v10, v10, v6
	v_pack_b32_f16 v7, v7, v8
	v_fmac_f16_e32 v21, 0x34f2, v1
	v_fmac_f16_e32 v38, 0x34f2, v4
	v_sub_f16_e32 v1, v2, v5
	v_sub_f16_e32 v2, v15, v6
	v_fmamk_f16 v4, v34, 0xbb9c, v0
	v_sub_f16_e32 v5, v12, v13
	v_sub_f16_e32 v6, v17, v14
	v_fmamk_f16 v8, v37, 0x3b9c, v25
	v_fmac_f16_e32 v45, 0xbb9c, v32
	v_fmac_f16_e32 v20, 0x3b9c, v35
	;; [unrolled: 1-line block ×6, first 2 shown]
	v_add_f16_e32 v11, v11, v14
	v_fmac_f16_e32 v33, 0xb8b4, v34
	v_fmac_f16_e32 v36, 0x38b4, v37
	v_add_f16_e32 v1, v1, v2
	v_fmac_f16_e32 v4, 0xb8b4, v32
	v_add_f16_e32 v2, v5, v6
	v_fmac_f16_e32 v8, 0x38b4, v35
	v_fmac_f16_e32 v45, 0x38b4, v34
	;; [unrolled: 1-line block ×7, first 2 shown]
	v_add_f16_e32 v10, v10, v15
	v_add_f16_e32 v11, v11, v17
	v_fmac_f16_e32 v33, 0x34f2, v19
	v_fmac_f16_e32 v36, 0x34f2, v29
	;; [unrolled: 1-line block ×10, first 2 shown]
	v_pack_b32_f16 v39, v39, v40
	v_pack_b32_f16 v10, v10, v11
	;; [unrolled: 1-line block ×8, first 2 shown]
	ds_write2_b32 v124, v39, v10 offset0:116 offset1:241
	ds_write2_b32 v139, v7, v1 offset0:80 offset1:205
	ds_write_b32 v144, v3 offset:5500
	ds_write2_b32 v127, v2, v20 offset0:62 offset1:187
	ds_write2_b32 v120, v4, v0 offset0:44 offset1:169
	s_waitcnt lgkmcnt(0)
	s_barrier
	buffer_gl0_inv
	ds_read2_b32 v[2:3], v144 offset1:125
	ds_read2_b32 v[4:5], v146 offset0:98 offset1:223
	s_clause 0x1
	buffer_load_dword v14, off, s[20:23], 0 offset:48
	buffer_load_dword v15, off, s[20:23], 0 offset:52
	v_mad_u64_u32 v[10:11], null, s8, v138, 0
	s_waitcnt lgkmcnt(1)
	v_lshrrev_b32_e32 v16, 16, v2
	s_waitcnt lgkmcnt(0)
	v_lshrrev_b32_e32 v20, 16, v4
	v_mul_f16_sdwa v17, v142, v2 dst_sel:DWORD dst_unused:UNUSED_PAD src0_sel:WORD_1 src1_sel:DWORD
	v_lshrrev_b32_e32 v23, 16, v3
	v_mul_f16_sdwa v0, v142, v16 dst_sel:DWORD dst_unused:UNUSED_PAD src0_sel:WORD_1 src1_sel:DWORD
	v_mul_f16_sdwa v1, v141, v20 dst_sel:DWORD dst_unused:UNUSED_PAD src0_sel:WORD_1 src1_sel:DWORD
	v_fmac_f16_e32 v0, v142, v2
	v_fmac_f16_e32 v1, v141, v4
	v_mul_f16_sdwa v4, v141, v4 dst_sel:DWORD dst_unused:UNUSED_PAD src0_sel:WORD_1 src1_sel:DWORD
	v_cvt_f32_f16_e32 v0, v0
	v_cvt_f32_f16_e32 v1, v1
	v_cvt_f64_f32_e32 v[8:9], v0
	v_cvt_f64_f32_e32 v[12:13], v1
	ds_read2_b32 v[1:2], v135 offset0:68 offset1:193
	s_waitcnt vmcnt(1)
	v_mad_u64_u32 v[6:7], null, s10, v14, 0
	v_mov_b32_e32 v0, v7
	v_mov_b32_e32 v7, v11
	s_waitcnt vmcnt(0) lgkmcnt(0)
	v_mad_u64_u32 v[14:15], null, s11, v14, v[0:1]
	v_fma_f16 v0, v142, v16, -v17
	v_mad_u64_u32 v[15:16], null, s9, v138, v[7:8]
	v_mul_f64 v[16:17], v[8:9], s[6:7]
	v_cvt_f32_f16_e32 v0, v0
	v_mov_b32_e32 v7, v14
	v_mov_b32_e32 v11, v15
	v_cvt_f64_f32_e32 v[14:15], v0
	v_fma_f16 v0, v141, v20, -v4
	v_lshlrev_b64 v[18:19], 2, v[6:7]
	v_lshrrev_b32_e32 v4, 16, v1
	v_mul_f64 v[7:8], v[12:13], s[6:7]
	v_lshlrev_b64 v[9:10], 2, v[10:11]
	v_cvt_f32_f16_e32 v0, v0
	v_mul_f16_sdwa v6, v143, v4 dst_sel:DWORD dst_unused:UNUSED_PAD src0_sel:WORD_1 src1_sel:DWORD
	v_add_co_u32 v11, vcc_lo, s0, v18
	v_add_co_ci_u32_e32 v12, vcc_lo, s1, v19, vcc_lo
	v_cvt_f64_f32_e32 v[18:19], v0
	v_fmac_f16_e32 v6, v143, v1
	v_and_or_b32 v13, 0x1ff, v17, v16
	v_add_co_u32 v11, vcc_lo, v11, v9
	v_add_co_ci_u32_e32 v12, vcc_lo, v12, v10, vcc_lo
	v_cvt_f32_f16_e32 v0, v6
	v_mul_f16_sdwa v6, v143, v1 dst_sel:DWORD dst_unused:UNUSED_PAD src0_sel:WORD_1 src1_sel:DWORD
	v_cmp_ne_u32_e32 vcc_lo, 0, v13
	v_mul_f64 v[13:14], v[14:15], s[6:7]
	v_bfe_u32 v21, v17, 20, 11
	v_cvt_f64_f32_e32 v[0:1], v0
	v_fma_f16 v4, v143, v4, -v6
	v_and_or_b32 v7, 0x1ff, v8, v7
	v_cndmask_b32_e64 v20, 0, 1, vcc_lo
	v_sub_nc_u32_e32 v6, 0x3f1, v21
	v_bfe_u32 v25, v8, 20, 11
	v_cvt_f32_f16_e32 v4, v4
	v_cmp_ne_u32_e32 vcc_lo, 0, v7
	v_lshrrev_b32_e32 v22, 8, v17
	v_lshrrev_b32_e32 v24, 8, v8
	v_mul_f64 v[15:16], v[18:19], s[6:7]
	v_mul_f16_sdwa v18, v140, v23 dst_sel:DWORD dst_unused:UNUSED_PAD src0_sel:WORD_1 src1_sel:DWORD
	v_cvt_f64_f32_e32 v[9:10], v4
	v_cndmask_b32_e64 v7, 0, 1, vcc_lo
	v_med3_i32 v19, v6, 0, 13
	v_sub_nc_u32_e32 v6, 0x3f1, v25
	v_fmac_f16_e32 v18, v140, v3
	v_and_or_b32 v4, 0xffe, v22, v20
	v_and_or_b32 v20, 0xffe, v24, v7
	v_add_nc_u32_e32 v21, 0xfffffc10, v21
	v_med3_i32 v24, v6, 0, 13
	v_cvt_f32_f16_e32 v18, v18
	v_mul_f64 v[6:7], v[0:1], s[6:7]
	v_and_or_b32 v13, 0x1ff, v14, v13
	v_or_b32_e32 v26, 0x1000, v20
	v_or_b32_e32 v22, 0x1000, v4
	v_cvt_f64_f32_e32 v[0:1], v18
	v_lshrrev_b32_e32 v18, 8, v14
	v_cmp_ne_u32_e32 vcc_lo, 0, v13
	v_lshrrev_b32_e32 v27, v24, v26
	v_bfe_u32 v29, v14, 20, 11
	v_lshrrev_b32_e32 v28, v19, v22
	v_and_or_b32 v15, 0x1ff, v16, v15
	v_cndmask_b32_e64 v13, 0, 1, vcc_lo
	v_mul_f64 v[9:10], v[9:10], s[6:7]
	v_lshlrev_b32_e32 v24, v24, v27
	v_lshlrev_b32_e32 v19, v19, v28
	v_cmp_ne_u32_e64 s0, 0, v15
	v_and_or_b32 v18, 0xffe, v18, v13
	v_sub_nc_u32_e32 v13, 0x3f1, v29
	v_cmp_ne_u32_e32 vcc_lo, v24, v26
	v_lshrrev_b32_e32 v24, 8, v16
	v_cndmask_b32_e64 v15, 0, 1, s0
	v_or_b32_e32 v26, 0x1000, v18
	v_and_or_b32 v6, 0x1ff, v7, v6
	v_med3_i32 v13, v13, 0, 13
	v_lshrrev_b32_e32 v30, 8, v7
	v_and_or_b32 v15, 0xffe, v24, v15
	v_mul_f64 v[0:1], v[0:1], s[6:7]
	v_cmp_ne_u32_e64 s0, 0, v6
	v_lshrrev_b32_e32 v24, v13, v26
	v_add_nc_u32_e32 v29, 0xfffffc10, v29
	v_cmp_gt_i32_e64 s2, 31, v21
	v_mul_f16_sdwa v3, v140, v3 dst_sel:DWORD dst_unused:UNUSED_PAD src0_sel:WORD_1 src1_sel:DWORD
	v_cndmask_b32_e64 v6, 0, 1, s0
	v_cmp_ne_u32_e64 s0, v19, v22
	v_and_or_b32 v22, 0x1ff, v10, v9
	v_lshlrev_b32_e32 v13, v13, v24
	v_fma_f16 v3, v140, v23, -v3
	v_and_or_b32 v9, 0xffe, v30, v6
	v_cndmask_b32_e64 v6, 0, 1, s0
	v_cmp_ne_u32_e64 s0, 0, v22
	v_bfe_u32 v23, v16, 20, 11
	v_add_nc_u32_e32 v25, 0xfffffc10, v25
	v_cvt_f32_f16_e32 v3, v3
	v_or_b32_e32 v6, v28, v6
	v_cndmask_b32_e64 v22, 0, 1, s0
	v_cmp_ne_u32_e64 s0, v13, v26
	v_lshl_or_b32 v28, v21, 12, v4
	v_lshrrev_b32_e32 v13, 8, v10
	v_and_or_b32 v0, 0x1ff, v1, v0
	v_sub_nc_u32_e32 v19, 0x3f1, v23
	v_cndmask_b32_e64 v26, 0, 1, s0
	v_cmp_gt_i32_e64 s0, 1, v21
	v_and_or_b32 v13, 0xffe, v13, v22
	v_add_nc_u32_e32 v23, 0xfffffc10, v23
	v_med3_i32 v19, v19, 0, 13
	v_or_b32_e32 v22, v24, v26
	v_cndmask_b32_e64 v6, v28, v6, s0
	v_cmp_ne_u32_e64 s0, 0, v0
	v_lshl_or_b32 v24, v29, 12, v18
	v_lshrrev_b32_e32 v14, 16, v14
	v_bfe_u32 v31, v1, 20, 11
	v_and_b32_e32 v26, 7, v6
	v_cndmask_b32_e64 v0, 0, 1, s0
	v_cmp_gt_i32_e64 s0, 1, v29
	v_lshrrev_b32_e32 v6, 2, v6
	v_lshrrev_b32_e32 v8, 16, v8
	v_cmp_eq_u32_e64 s1, 3, v26
	v_or_b32_e32 v33, 0x1000, v13
	v_cndmask_b32_e64 v22, v24, v22, s0
	v_cmp_lt_i32_e64 s0, 5, v26
	v_lshrrev_b32_e32 v24, 8, v1
	v_or_b32_e32 v26, 0x1000, v15
	s_or_b32 s0, s1, s0
	v_and_or_b32 v0, 0xffe, v24, v0
	v_add_co_ci_u32_e64 v6, s0, 0, v6, s0
	v_cmp_ne_u32_e64 s0, 0, v4
	v_and_b32_e32 v24, 7, v22
	v_or_b32_e32 v34, 0x1000, v0
	v_cndmask_b32_e64 v6, 0x7c00, v6, s2
	v_cmp_eq_u32_e64 s2, 0x40f, v21
	v_cndmask_b32_e64 v4, 0, 1, s0
	v_cmp_lt_i32_e64 s0, 5, v24
	v_cmp_eq_u32_e64 s1, 3, v24
	v_bfe_u32 v24, v7, 20, 11
	v_lshrrev_b32_e32 v21, v19, v26
	v_lshl_or_b32 v4, v4, 9, 0x7c00
	v_lshrrev_b32_e32 v7, 16, v7
	v_lshlrev_b32_e32 v19, v19, v21
	v_cndmask_b32_e64 v4, v6, v4, s2
	v_sub_nc_u32_e32 v6, 0x3f1, v24
	s_mul_hi_u32 s2, s8, 0x1388
	v_med3_i32 v28, v6, 0, 13
	v_lshrrev_b32_e32 v6, 16, v17
	v_lshrrev_b32_e32 v17, 2, v22
	v_cndmask_b32_e64 v22, 0, 1, vcc_lo
	s_or_b32 vcc_lo, s1, s0
	v_and_or_b32 v30, 0x8000, v6, v4
	v_add_co_ci_u32_e32 v17, vcc_lo, 0, v17, vcc_lo
	v_cmp_ne_u32_e32 vcc_lo, 0, v18
	v_or_b32_e32 v22, v27, v22
	v_lshl_or_b32 v27, v25, 12, v20
	v_cndmask_b32_e64 v18, 0, 1, vcc_lo
	v_cmp_gt_i32_e32 vcc_lo, 31, v29
	v_lshl_or_b32 v18, v18, 9, 0x7c00
	v_cndmask_b32_e32 v17, 0x7c00, v17, vcc_lo
	v_cmp_gt_i32_e32 vcc_lo, 1, v25
	v_cndmask_b32_e32 v22, v27, v22, vcc_lo
	v_cmp_eq_u32_e32 vcc_lo, 0x40f, v29
	v_bfe_u32 v29, v10, 20, 11
	v_or_b32_e32 v27, 0x1000, v9
	v_lshrrev_b32_e32 v10, 16, v10
	v_and_b32_e32 v4, 7, v22
	v_cndmask_b32_e32 v17, v17, v18, vcc_lo
	v_lshrrev_b32_e32 v18, 16, v5
	v_cmp_ne_u32_e32 vcc_lo, v19, v26
	v_sub_nc_u32_e32 v6, 0x3f1, v29
	v_cmp_lt_i32_e64 s0, 5, v4
	v_cmp_eq_u32_e64 s1, 3, v4
	v_mul_f16_sdwa v19, v136, v18 dst_sel:DWORD dst_unused:UNUSED_PAD src0_sel:WORD_1 src1_sel:DWORD
	v_cndmask_b32_e64 v4, 0, 1, vcc_lo
	v_cmp_gt_i32_e32 vcc_lo, 1, v23
	v_med3_i32 v32, v6, 0, 13
	v_lshrrev_b32_e32 v6, 2, v22
	v_fmac_f16_e32 v19, v136, v5
	v_mul_f16_sdwa v5, v136, v5 dst_sel:DWORD dst_unused:UNUSED_PAD src0_sel:WORD_1 src1_sel:DWORD
	v_or_b32_e32 v4, v21, v4
	v_sub_nc_u32_e32 v21, 0x3f1, v31
	v_lshrrev_b32_e32 v26, v28, v27
	v_fma_f16 v18, v136, v18, -v5
	v_lshl_or_b32 v5, v23, 12, v15
	v_med3_i32 v21, v21, 0, 13
	v_cndmask_b32_e32 v22, v5, v4, vcc_lo
	s_or_b32 vcc_lo, s1, s0
	v_cvt_f64_f32_e32 v[3:4], v3
	v_add_co_ci_u32_e32 v5, vcc_lo, 0, v6, vcc_lo
	v_cmp_ne_u32_e32 vcc_lo, 0, v20
	v_and_or_b32 v20, 0x8000, v14, v17
	v_and_b32_e32 v14, 7, v22
	v_cvt_f32_f16_e32 v17, v19
	v_cndmask_b32_e64 v6, 0, 1, vcc_lo
	v_cmp_gt_i32_e32 vcc_lo, 31, v25
	v_cmp_eq_u32_e64 s0, 3, v14
	v_lshl_or_b32 v6, v6, 9, 0x7c00
	v_cndmask_b32_e32 v5, 0x7c00, v5, vcc_lo
	v_cmp_eq_u32_e32 vcc_lo, 0x40f, v25
	v_lshrrev_b32_e32 v25, v32, v33
	v_cndmask_b32_e32 v19, v5, v6, vcc_lo
	v_cmp_lt_i32_e32 vcc_lo, 5, v14
	v_lshrrev_b32_e32 v14, 2, v22
	v_cvt_f64_f32_e32 v[5:6], v17
	v_lshrrev_b32_e32 v22, v21, v34
	v_and_or_b32 v8, 0x8000, v8, v19
	s_or_b32 vcc_lo, s0, vcc_lo
	s_mul_i32 s0, s9, 0x1388
	v_add_co_ci_u32_e32 v17, vcc_lo, 0, v14, vcc_lo
	v_cmp_ne_u32_e32 vcc_lo, 0, v15
	v_mul_f64 v[14:15], v[3:4], s[6:7]
	v_cvt_f32_f16_e32 v3, v18
	s_add_i32 s2, s2, s0
	v_cndmask_b32_e64 v35, 0, 1, vcc_lo
	v_cmp_gt_i32_e32 vcc_lo, 31, v23
	v_lshl_or_b32 v35, v35, 9, 0x7c00
	v_cndmask_b32_e32 v36, 0x7c00, v17, vcc_lo
	v_cvt_f64_f32_e32 v[17:18], v3
	v_cmp_eq_u32_e32 vcc_lo, 0x40f, v23
	v_lshlrev_b32_e32 v23, v28, v26
	v_mul_f64 v[3:4], v[5:6], s[6:7]
	v_lshrrev_b32_e32 v6, 16, v16
	v_lshlrev_b32_e32 v28, v32, v25
	v_cndmask_b32_e32 v5, v36, v35, vcc_lo
	v_lshlrev_b32_e32 v32, v21, v22
	v_and_b32_e32 v21, 0xffff, v30
	v_and_or_b32 v5, 0x8000, v6, v5
	v_and_b32_e32 v6, 0xffff, v8
	v_and_or_b32 v8, 0x1ff, v15, v14
	v_lshl_or_b32 v16, v20, 16, v21
	v_add_co_u32 v20, vcc_lo, v11, s3
	v_lshl_or_b32 v14, v5, 16, v6
	v_add_co_ci_u32_e32 v21, vcc_lo, s2, v12, vcc_lo
	v_cmp_ne_u32_e32 vcc_lo, 0, v8
	global_store_dword v[11:12], v16, off
	global_store_dword v[20:21], v14, off
	v_mul_f64 v[5:6], v[17:18], s[6:7]
	v_lshrrev_b32_e32 v17, 8, v15
	v_and_or_b32 v3, 0x1ff, v4, v3
	v_cndmask_b32_e64 v8, 0, 1, vcc_lo
	v_lshrrev_b32_e32 v11, 8, v4
	v_bfe_u32 v30, v15, 20, 11
	v_bfe_u32 v19, v4, 20, 11
	v_cmp_ne_u32_e32 vcc_lo, 0, v3
	v_and_or_b32 v12, 0xffe, v17, v8
	v_lshrrev_b32_e32 v4, 16, v4
	v_sub_nc_u32_e32 v8, 0x3f1, v30
	v_sub_nc_u32_e32 v14, 0x3f1, v19
	v_cndmask_b32_e64 v3, 0, 1, vcc_lo
	v_add_co_u32 v16, vcc_lo, v20, s3
	v_add_co_ci_u32_e32 v17, vcc_lo, s2, v21, vcc_lo
	v_and_or_b32 v18, 0xffe, v11, v3
	v_cmp_ne_u32_e32 vcc_lo, v23, v27
	v_med3_i32 v21, v8, 0, 13
	v_add_nc_u32_e32 v8, 0xfffffc10, v24
	v_add_nc_u32_e32 v24, 0xfffffc10, v29
	v_and_or_b32 v3, 0x1ff, v6, v5
	v_cndmask_b32_e64 v5, 0, 1, vcc_lo
	v_med3_i32 v11, v14, 0, 13
	v_lshl_or_b32 v20, v8, 12, v9
	v_lshrrev_b32_e32 v14, 8, v6
	v_cmp_ne_u32_e32 vcc_lo, 0, v3
	v_or_b32_e32 v5, v26, v5
	v_mul_f16_sdwa v29, v134, v2 dst_sel:DWORD dst_unused:UNUSED_PAD src0_sel:WORD_1 src1_sel:DWORD
	v_cmp_gt_i32_e64 s1, 31, v8
	v_or_b32_e32 v35, 0x1000, v12
	v_cndmask_b32_e64 v3, 0, 1, vcc_lo
	v_cmp_ne_u32_e32 vcc_lo, v28, v33
	v_lshrrev_b32_e32 v28, 16, v2
	v_cndmask_b32_e64 v23, 0, 1, vcc_lo
	v_cmp_gt_i32_e32 vcc_lo, 1, v8
	v_mul_f16_sdwa v27, v134, v28 dst_sel:DWORD dst_unused:UNUSED_PAD src0_sel:WORD_1 src1_sel:DWORD
	v_cndmask_b32_e32 v26, v20, v5, vcc_lo
	v_or_b32_e32 v20, v25, v23
	v_lshl_or_b32 v23, v24, 12, v13
	v_fmac_f16_e32 v27, v134, v2
	v_cmp_gt_i32_e32 vcc_lo, 1, v24
	v_and_or_b32 v5, 0xffe, v14, v3
	v_and_b32_e32 v3, 7, v26
	v_lshrrev_b32_e32 v25, 2, v26
	v_cndmask_b32_e32 v14, v23, v20, vcc_lo
	v_cvt_f32_f16_e32 v23, v27
	v_cmp_lt_i32_e32 vcc_lo, 5, v3
	v_cmp_eq_u32_e64 s0, 3, v3
	v_bfe_u32 v20, v6, 20, 11
	v_and_b32_e32 v26, 7, v14
	v_cvt_f64_f32_e32 v[2:3], v23
	s_or_b32 vcc_lo, s0, vcc_lo
	v_add_co_ci_u32_e32 v23, vcc_lo, 0, v25, vcc_lo
	v_cmp_ne_u32_e32 vcc_lo, 0, v9
	v_cmp_eq_u32_e64 s0, 3, v26
	v_or_b32_e32 v25, 0x1000, v18
	v_cndmask_b32_e64 v23, 0x7c00, v23, s1
	v_cmp_eq_u32_e64 s1, 0x40f, v8
	v_cndmask_b32_e64 v9, 0, 1, vcc_lo
	v_cmp_lt_i32_e32 vcc_lo, 5, v26
	v_sub_nc_u32_e32 v26, 0x3f1, v20
	v_lshrrev_b32_e32 v8, 2, v14
	v_add_nc_u32_e32 v20, 0xfffffc10, v20
	v_lshl_or_b32 v9, v9, 9, 0x7c00
	s_or_b32 vcc_lo, s0, vcc_lo
	v_med3_i32 v14, v26, 0, 13
	v_add_co_ci_u32_e32 v27, vcc_lo, 0, v8, vcc_lo
	v_cndmask_b32_e64 v26, v23, v9, s1
	v_mul_f64 v[8:9], v[2:3], s[6:7]
	v_cmp_ne_u32_e32 vcc_lo, 0, v13
	v_or_b32_e32 v23, 0x1000, v5
	s_mul_hi_u32 s0, s8, 0xffffdae4
	v_and_or_b32 v7, 0x8000, v7, v26
	s_mul_i32 s1, s9, 0xffffdae4
	v_cndmask_b32_e64 v13, 0, 1, vcc_lo
	v_cmp_gt_i32_e32 vcc_lo, 31, v24
	s_sub_i32 s4, s0, s8
	s_add_i32 s4, s4, s1
	v_lshl_or_b32 v3, v13, 9, 0x7c00
	v_cndmask_b32_e32 v2, 0x7c00, v27, vcc_lo
	v_cmp_eq_u32_e32 vcc_lo, 0x40f, v24
	v_lshrrev_b32_e32 v24, v14, v23
	v_lshrrev_b32_e32 v27, v11, v25
	;; [unrolled: 1-line block ×3, first 2 shown]
	v_cndmask_b32_e32 v2, v2, v3, vcc_lo
	v_cmp_ne_u32_e32 vcc_lo, v32, v34
	v_lshlrev_b32_e32 v26, v14, v24
	v_lshlrev_b32_e32 v33, v11, v27
	v_and_or_b32 v14, 0x1ff, v9, v8
	v_and_or_b32 v2, 0x8000, v10, v2
	v_and_b32_e32 v10, 0xffff, v7
	v_cndmask_b32_e64 v7, 0, 1, vcc_lo
	v_fma_f16 v11, v134, v28, -v29
	v_add_nc_u32_e32 v28, 0xfffffc10, v31
	v_cmp_ne_u32_e32 vcc_lo, 0, v14
	v_lshlrev_b32_e32 v3, v21, v13
	v_or_b32_e32 v21, v22, v7
	ds_read2_b32 v[7:8], v137 offset0:122 offset1:247
	v_lshl_or_b32 v22, v28, 12, v0
	v_cndmask_b32_e64 v14, 0, 1, vcc_lo
	v_cmp_gt_i32_e32 vcc_lo, 1, v28
	v_lshrrev_b32_e32 v29, 8, v9
	v_lshl_or_b32 v32, v2, 16, v10
	v_cndmask_b32_e32 v31, v22, v21, vcc_lo
	v_cmp_ne_u32_e32 vcc_lo, v3, v35
	v_and_or_b32 v21, 0xffe, v29, v14
	v_add_nc_u32_e32 v29, 0xfffffc10, v30
	v_bfe_u32 v22, v9, 20, 11
	v_and_b32_e32 v2, 7, v31
	v_cndmask_b32_e64 v3, 0, 1, vcc_lo
	global_store_dword v[16:17], v32, off
	v_cmp_gt_i32_e64 s1, 1, v29
	v_lshrrev_b32_e32 v9, 16, v9
	v_cmp_lt_i32_e32 vcc_lo, 5, v2
	v_cmp_eq_u32_e64 s0, 3, v2
	v_cvt_f32_f16_e32 v2, v11
	v_or_b32_e32 v10, v13, v3
	v_lshl_or_b32 v11, v29, 12, v12
	s_waitcnt lgkmcnt(0)
	v_lshrrev_b32_e32 v30, 16, v7
	v_lshrrev_b32_e32 v13, 2, v31
	v_cvt_f64_f32_e32 v[2:3], v2
	s_or_b32 vcc_lo, s0, vcc_lo
	v_cndmask_b32_e64 v10, v11, v10, s1
	v_mul_f16_sdwa v11, v133, v30 dst_sel:DWORD dst_unused:UNUSED_PAD src0_sel:WORD_1 src1_sel:DWORD
	v_add_co_ci_u32_e32 v13, vcc_lo, 0, v13, vcc_lo
	v_cmp_gt_i32_e32 vcc_lo, 31, v28
	v_and_b32_e32 v14, 7, v10
	v_fmac_f16_e32 v11, v133, v7
	v_cmp_ne_u32_e64 s1, 0, v0
	v_mul_f16_sdwa v7, v133, v7 dst_sel:DWORD dst_unused:UNUSED_PAD src0_sel:WORD_1 src1_sel:DWORD
	v_cndmask_b32_e32 v34, 0x7c00, v13, vcc_lo
	v_cmp_lt_i32_e32 vcc_lo, 5, v14
	v_cmp_eq_u32_e64 s0, 3, v14
	v_cvt_f32_f16_e32 v11, v11
	v_lshrrev_b32_e32 v13, 2, v10
	v_cndmask_b32_e64 v0, 0, 1, s1
	v_sub_nc_u32_e32 v31, 0x3f1, v22
	s_or_b32 vcc_lo, s0, vcc_lo
	v_cvt_f64_f32_e32 v[10:11], v11
	v_add_co_ci_u32_e32 v35, vcc_lo, 0, v13, vcc_lo
	v_cmp_ne_u32_e32 vcc_lo, 0, v12
	v_mul_f64 v[13:14], v[2:3], s[6:7]
	v_lshl_or_b32 v0, v0, 9, 0x7c00
	v_fma_f16 v3, v133, v30, -v7
	v_or_b32_e32 v30, 0x1000, v21
	v_cndmask_b32_e64 v2, 0, 1, vcc_lo
	v_cmp_gt_i32_e32 vcc_lo, 31, v29
	v_cmp_gt_i32_e64 s1, 1, v20
	v_lshl_or_b32 v2, v2, 9, 0x7c00
	v_cndmask_b32_e32 v7, 0x7c00, v35, vcc_lo
	v_cmp_eq_u32_e32 vcc_lo, 0x40f, v28
	v_cndmask_b32_e32 v12, v34, v0, vcc_lo
	v_cvt_f32_f16_e32 v0, v3
	v_cmp_eq_u32_e32 vcc_lo, 0x40f, v29
	v_lshrrev_b32_e32 v3, 16, v1
	v_mul_f64 v[10:11], v[10:11], s[6:7]
	v_cvt_f64_f32_e32 v[0:1], v0
	v_cndmask_b32_e32 v2, v7, v2, vcc_lo
	v_lshrrev_b32_e32 v7, 16, v15
	v_and_or_b32 v3, 0x8000, v3, v12
	v_add_co_u32 v28, vcc_lo, v16, s5
	v_add_co_ci_u32_e32 v29, vcc_lo, s4, v17, vcc_lo
	v_and_or_b32 v2, 0x8000, v7, v2
	v_and_or_b32 v7, 0x1ff, v14, v13
	v_med3_i32 v12, v31, 0, 13
	v_and_b32_e32 v3, 0xffff, v3
	v_bfe_u32 v32, v14, 20, 11
	v_add_nc_u32_e32 v15, 0xfffffc10, v19
	v_cmp_ne_u32_e32 vcc_lo, 0, v7
	v_lshrrev_b32_e32 v31, v12, v30
	v_lshl_or_b32 v2, v2, 16, v3
	v_lshrrev_b32_e32 v7, 8, v14
	v_cndmask_b32_e64 v3, 0, 1, vcc_lo
	v_lshlrev_b32_e32 v17, v12, v31
	global_store_dword v[28:29], v2, off
	v_mul_f64 v[12:13], v[0:1], s[6:7]
	v_and_or_b32 v1, 0x1ff, v11, v10
	v_and_or_b32 v34, 0xffe, v7, v3
	ds_read2_b32 v[2:3], v211 offset0:92 offset1:217
	v_add_co_u32 v28, vcc_lo, v28, s3
	v_add_co_ci_u32_e32 v29, vcc_lo, s2, v29, vcc_lo
	v_sub_nc_u32_e32 v0, 0x3f1, v32
	v_cmp_ne_u32_e32 vcc_lo, 0, v1
	v_lshrrev_b32_e32 v1, 8, v11
	v_or_b32_e32 v36, 0x1000, v34
	v_med3_i32 v35, v0, 0, 13
	v_cndmask_b32_e64 v0, 0, 1, vcc_lo
	v_cmp_ne_u32_e32 vcc_lo, v33, v25
	v_bfe_u32 v25, v11, 20, 11
	v_lshrrev_b32_e32 v19, v35, v36
	v_and_or_b32 v7, 0xffe, v1, v0
	v_cndmask_b32_e64 v10, 0, 1, vcc_lo
	v_lshl_or_b32 v1, v15, 12, v18
	v_cmp_gt_i32_e32 vcc_lo, 1, v15
	v_and_or_b32 v12, 0x1ff, v13, v12
	v_or_b32_e32 v0, v27, v10
	s_waitcnt lgkmcnt(0)
	v_lshrrev_b32_e32 v27, 16, v2
	v_sub_nc_u32_e32 v10, 0x3f1, v25
	v_cndmask_b32_e32 v16, v1, v0, vcc_lo
	v_mul_f16_sdwa v0, v132, v27 dst_sel:DWORD dst_unused:UNUSED_PAD src0_sel:WORD_1 src1_sel:DWORD
	v_cmp_ne_u32_e32 vcc_lo, 0, v12
	v_med3_i32 v33, v10, 0, 13
	v_lshrrev_b32_e32 v12, 8, v13
	v_and_b32_e32 v1, 7, v16
	v_fmac_f16_e32 v0, v132, v2
	v_cndmask_b32_e64 v10, 0, 1, vcc_lo
	v_cmp_ne_u32_e32 vcc_lo, v26, v23
	v_mul_f16_sdwa v2, v132, v2 dst_sel:DWORD dst_unused:UNUSED_PAD src0_sel:WORD_1 src1_sel:DWORD
	v_cmp_eq_u32_e64 s0, 3, v1
	v_cvt_f32_f16_e32 v0, v0
	v_and_or_b32 v10, 0xffe, v12, v10
	v_cndmask_b32_e64 v23, 0, 1, vcc_lo
	v_cmp_lt_i32_e32 vcc_lo, 5, v1
	v_lshrrev_b32_e32 v12, 2, v16
	v_cvt_f64_f32_e32 v[0:1], v0
	v_fma_f16 v2, v132, v27, -v2
	v_or_b32_e32 v23, v24, v23
	s_or_b32 vcc_lo, s0, vcc_lo
	v_lshl_or_b32 v24, v20, 12, v5
	v_add_co_ci_u32_e32 v12, vcc_lo, 0, v12, vcc_lo
	v_cmp_ne_u32_e32 vcc_lo, 0, v18
	v_cvt_f32_f16_e32 v2, v2
	v_cndmask_b32_e64 v16, v24, v23, s1
	v_bfe_u32 v23, v13, 20, 11
	v_cndmask_b32_e64 v18, 0, 1, vcc_lo
	v_cmp_gt_i32_e32 vcc_lo, 31, v15
	v_and_b32_e32 v24, 7, v16
	v_lshrrev_b32_e32 v26, 2, v16
	v_lshl_or_b32 v18, v18, 9, 0x7c00
	v_cndmask_b32_e32 v12, 0x7c00, v12, vcc_lo
	v_cmp_eq_u32_e32 vcc_lo, 0x40f, v15
	v_sub_nc_u32_e32 v15, 0x3f1, v23
	v_cmp_lt_i32_e64 s0, 5, v24
	v_cmp_eq_u32_e64 s1, 3, v24
	v_or_b32_e32 v24, 0x1000, v7
	v_add_nc_u32_e32 v23, 0xfffffc10, v23
	v_med3_i32 v37, v15, 0, 13
	v_mul_f64 v[15:16], v[0:1], s[6:7]
	s_or_b32 s0, s1, s0
	v_add_co_ci_u32_e64 v0, s0, 0, v26, s0
	v_cmp_ne_u32_e64 s0, 0, v5
	v_cndmask_b32_e32 v5, v12, v18, vcc_lo
	v_cmp_gt_i32_e32 vcc_lo, 31, v20
	v_lshrrev_b32_e32 v26, v33, v24
	v_or_b32_e32 v12, 0x1000, v10
	v_cndmask_b32_e64 v1, 0, 1, s0
	v_and_or_b32 v4, 0x8000, v4, v5
	v_cndmask_b32_e32 v0, 0x7c00, v0, vcc_lo
	v_cmp_eq_u32_e32 vcc_lo, 0x40f, v20
	v_add_nc_u32_e32 v20, 0xfffffc10, v22
	v_lshl_or_b32 v1, v1, 9, 0x7c00
	v_lshlrev_b32_e32 v5, v35, v19
	v_and_b32_e32 v4, 0xffff, v4
	v_lshrrev_b32_e32 v38, v37, v12
	v_lshl_or_b32 v27, v20, 12, v21
	v_cndmask_b32_e32 v0, v0, v1, vcc_lo
	v_cmp_ne_u32_e32 vcc_lo, v17, v30
	v_and_or_b32 v15, 0x1ff, v16, v15
	v_lshrrev_b32_e32 v1, 16, v6
	v_lshrrev_b32_e32 v22, 8, v16
	v_cmp_eq_u32_e64 s1, 0x40f, v20
	v_cndmask_b32_e64 v17, 0, 1, vcc_lo
	v_cmp_ne_u32_e32 vcc_lo, 0, v15
	v_and_or_b32 v18, 0x8000, v1, v0
	ds_read2_b32 v[0:1], v127 offset0:62 offset1:187
	v_lshlrev_b32_e32 v6, v33, v26
	v_or_b32_e32 v17, v31, v17
	v_cndmask_b32_e64 v15, 0, 1, vcc_lo
	v_cmp_gt_i32_e32 vcc_lo, 1, v20
	v_lshl_or_b32 v30, v18, 16, v4
	v_lshlrev_b32_e32 v33, v37, v38
	v_bfe_u32 v31, v16, 20, 11
	v_and_or_b32 v22, 0xffe, v22, v15
	v_cndmask_b32_e32 v15, v27, v17, vcc_lo
	v_cmp_ne_u32_e32 vcc_lo, v5, v36
	v_add_nc_u32_e32 v27, 0xfffffc10, v32
	v_cvt_f64_f32_e32 v[4:5], v2
	global_store_dword v[28:29], v30, off
	v_sub_nc_u32_e32 v35, 0x3f1, v31
	v_cndmask_b32_e64 v17, 0, 1, vcc_lo
	v_lshl_or_b32 v18, v27, 12, v34
	v_cmp_gt_i32_e32 vcc_lo, 1, v27
	v_med3_i32 v35, v35, 0, 13
	v_or_b32_e32 v17, v19, v17
	v_and_b32_e32 v19, 7, v15
	s_waitcnt lgkmcnt(0)
	v_lshrrev_b32_e32 v2, 16, v0
	v_lshrrev_b32_e32 v15, 2, v15
	v_cndmask_b32_e32 v36, v18, v17, vcc_lo
	v_cmp_lt_i32_e32 vcc_lo, 5, v19
	v_cmp_eq_u32_e64 s0, 3, v19
	v_mul_f16_sdwa v32, v131, v2 dst_sel:DWORD dst_unused:UNUSED_PAD src0_sel:WORD_1 src1_sel:DWORD
	v_and_b32_e32 v19, 7, v36
	s_or_b32 vcc_lo, s0, vcc_lo
	v_fmac_f16_e32 v32, v131, v0
	v_add_co_ci_u32_e32 v15, vcc_lo, 0, v15, vcc_lo
	v_cmp_ne_u32_e32 vcc_lo, 0, v21
	v_cmp_gt_i32_e64 s0, 31, v20
	v_cvt_f32_f16_e32 v17, v32
	v_mul_f16_sdwa v0, v131, v0 dst_sel:DWORD dst_unused:UNUSED_PAD src0_sel:WORD_1 src1_sel:DWORD
	v_mul_f64 v[4:5], v[4:5], s[6:7]
	v_cndmask_b32_e64 v21, 0, 1, vcc_lo
	v_cmp_lt_i32_e32 vcc_lo, 5, v19
	v_cndmask_b32_e64 v15, 0x7c00, v15, s0
	v_cmp_eq_u32_e64 s0, 3, v19
	v_lshrrev_b32_e32 v19, 2, v36
	v_cvt_f64_f32_e32 v[17:18], v17
	v_fma_f16 v0, v131, v2, -v0
	v_lshl_or_b32 v21, v21, 9, 0x7c00
	s_or_b32 vcc_lo, s0, vcc_lo
	v_add_co_ci_u32_e32 v2, vcc_lo, 0, v19, vcc_lo
	v_cmp_ne_u32_e32 vcc_lo, 0, v34
	v_cvt_f32_f16_e32 v0, v0
	v_cndmask_b32_e64 v15, v15, v21, s1
	v_cmp_gt_i32_e64 s1, 1, v23
	v_lshrrev_b32_e32 v34, 16, v8
	v_cndmask_b32_e64 v19, 0, 1, vcc_lo
	v_cmp_gt_i32_e32 vcc_lo, 31, v27
	v_and_or_b32 v9, 0x8000, v9, v15
	v_and_or_b32 v4, 0x1ff, v5, v4
	v_lshl_or_b32 v21, v19, 9, 0x7c00
	v_cvt_f64_f32_e32 v[19:20], v0
	v_cndmask_b32_e32 v2, 0x7c00, v2, vcc_lo
	v_cmp_eq_u32_e32 vcc_lo, 0x40f, v27
	v_or_b32_e32 v27, 0x1000, v22
	v_mul_f64 v[17:18], v[17:18], s[6:7]
	v_mul_f16_sdwa v36, v129, v34 dst_sel:DWORD dst_unused:UNUSED_PAD src0_sel:WORD_1 src1_sel:DWORD
	v_cndmask_b32_e32 v0, v2, v21, vcc_lo
	v_cmp_ne_u32_e32 vcc_lo, 0, v4
	v_lshrrev_b32_e32 v2, 16, v14
	v_lshrrev_b32_e32 v14, 8, v5
	;; [unrolled: 1-line block ×3, first 2 shown]
	v_bfe_u32 v21, v5, 20, 11
	v_cndmask_b32_e64 v4, 0, 1, vcc_lo
	v_and_or_b32 v0, 0x8000, v2, v0
	v_and_b32_e32 v2, 0xffff, v9
	v_fmac_f16_e32 v36, v129, v8
	v_sub_nc_u32_e32 v9, 0x3f1, v21
	v_and_or_b32 v4, 0xffe, v14, v4
	v_add_co_u32 v14, vcc_lo, v28, s3
	v_add_co_ci_u32_e32 v15, vcc_lo, s2, v29, vcc_lo
	v_mul_f64 v[19:20], v[19:20], s[6:7]
	v_lshl_or_b32 v0, v0, 16, v2
	v_lshlrev_b32_e32 v28, v35, v32
	v_and_or_b32 v17, 0x1ff, v18, v17
	v_med3_i32 v2, v9, 0, 13
	v_or_b32_e32 v9, 0x1000, v4
	global_store_dword v[14:15], v0, off
	v_lshrrev_b32_e32 v29, 8, v18
	v_cmp_ne_u32_e32 vcc_lo, 0, v17
	v_bfe_u32 v30, v18, 20, 11
	v_lshrrev_b32_e32 v0, v2, v9
	v_cndmask_b32_e64 v17, 0, 1, vcc_lo
	v_add_co_u32 v14, vcc_lo, v14, s5
	v_add_co_ci_u32_e32 v15, vcc_lo, s4, v15, vcc_lo
	v_cmp_ne_u32_e32 vcc_lo, v6, v24
	v_add_nc_u32_e32 v24, 0xfffffc10, v25
	v_lshlrev_b32_e32 v2, v2, v0
	v_sub_nc_u32_e32 v35, 0x3f1, v30
	v_and_or_b32 v19, 0x1ff, v20, v19
	v_cndmask_b32_e64 v6, 0, 1, vcc_lo
	v_and_or_b32 v17, 0xffe, v29, v17
	v_mul_f16_sdwa v29, v129, v8 dst_sel:DWORD dst_unused:UNUSED_PAD src0_sel:WORD_1 src1_sel:DWORD
	v_med3_i32 v35, v35, 0, 13
	v_cmp_ne_u32_e32 vcc_lo, 0, v19
	v_or_b32_e32 v6, v26, v6
	v_lshl_or_b32 v26, v24, 12, v7
	v_or_b32_e32 v8, 0x1000, v17
	v_fma_f16 v29, v129, v34, -v29
	v_cndmask_b32_e64 v19, 0, 1, vcc_lo
	v_cmp_gt_i32_e32 vcc_lo, 1, v24
	v_lshrrev_b32_e32 v25, 8, v20
	v_lshrrev_b32_e32 v37, v35, v8
	v_bfe_u32 v34, v20, 20, 11
	v_cndmask_b32_e32 v6, v26, v6, vcc_lo
	v_cmp_ne_u32_e32 vcc_lo, v33, v12
	v_lshlrev_b32_e32 v35, v35, v37
	v_and_or_b32 v19, 0xffe, v25, v19
	v_sub_nc_u32_e32 v25, 0x3f1, v34
	v_and_b32_e32 v26, 7, v6
	v_cndmask_b32_e64 v12, 0, 1, vcc_lo
	v_lshrrev_b32_e32 v6, 2, v6
	v_or_b32_e32 v33, 0x1000, v19
	v_med3_i32 v25, v25, 0, 13
	v_cmp_lt_i32_e32 vcc_lo, 5, v26
	v_or_b32_e32 v12, v38, v12
	v_lshl_or_b32 v38, v23, 12, v10
	v_cmp_eq_u32_e64 s0, 3, v26
	v_lshrrev_b32_e32 v26, v25, v33
	v_cndmask_b32_e64 v12, v38, v12, s1
	s_or_b32 vcc_lo, s0, vcc_lo
	v_cmp_ne_u32_e64 s1, v28, v27
	v_add_co_ci_u32_e32 v6, vcc_lo, 0, v6, vcc_lo
	v_and_b32_e32 v38, 7, v12
	v_cmp_gt_i32_e32 vcc_lo, 31, v24
	v_lshrrev_b32_e32 v12, 2, v12
	v_cndmask_b32_e64 v27, 0, 1, s1
	v_add_nc_u32_e32 v28, 0xfffffc10, v31
	v_cmp_eq_u32_e64 s0, 3, v38
	v_cndmask_b32_e32 v6, 0x7c00, v6, vcc_lo
	v_cmp_lt_i32_e32 vcc_lo, 5, v38
	v_cmp_ne_u32_e64 s1, 0, v7
	v_or_b32_e32 v27, v32, v27
	v_lshl_or_b32 v31, v28, 12, v22
	v_lshlrev_b32_e32 v25, v25, v26
	s_or_b32 vcc_lo, s0, vcc_lo
	v_cndmask_b32_e64 v7, 0, 1, s1
	v_add_co_ci_u32_e32 v12, vcc_lo, 0, v12, vcc_lo
	v_cmp_ne_u32_e32 vcc_lo, 0, v10
	v_cmp_ne_u32_e64 s0, v2, v9
	v_lshl_or_b32 v7, v7, 9, 0x7c00
	v_add_nc_u32_e32 v9, 0xfffffc10, v21
	v_cmp_ne_u32_e64 s1, v35, v8
	v_cndmask_b32_e64 v10, 0, 1, vcc_lo
	v_cmp_gt_i32_e32 vcc_lo, 1, v28
	v_cndmask_b32_e64 v2, 0, 1, s0
	v_cndmask_b32_e64 v8, 0, 1, s1
	v_lshl_or_b32 v10, v10, 9, 0x7c00
	v_cndmask_b32_e32 v27, v31, v27, vcc_lo
	v_cmp_gt_i32_e32 vcc_lo, 31, v23
	v_or_b32_e32 v0, v0, v2
	v_lshl_or_b32 v2, v9, 12, v4
	v_or_b32_e32 v8, v37, v8
	v_and_b32_e32 v31, 7, v27
	v_cndmask_b32_e32 v12, 0x7c00, v12, vcc_lo
	v_cmp_eq_u32_e32 vcc_lo, 0x40f, v24
	v_cmp_eq_u32_e64 s0, 3, v31
	v_cndmask_b32_e32 v6, v6, v7, vcc_lo
	v_cmp_eq_u32_e32 vcc_lo, 0x40f, v23
	v_lshrrev_b32_e32 v7, 16, v11
	v_lshrrev_b32_e32 v11, 16, v13
	v_cndmask_b32_e32 v10, v12, v10, vcc_lo
	v_cmp_lt_i32_e32 vcc_lo, 5, v31
	v_lshrrev_b32_e32 v12, 2, v27
	v_and_or_b32 v10, 0x8000, v11, v10
	s_or_b32 vcc_lo, s0, vcc_lo
	v_add_co_ci_u32_e32 v12, vcc_lo, 0, v12, vcc_lo
	v_cmp_ne_u32_e32 vcc_lo, 0, v22
	v_cndmask_b32_e64 v13, 0, 1, vcc_lo
	v_cmp_gt_i32_e32 vcc_lo, 1, v9
	v_cndmask_b32_e32 v0, v2, v0, vcc_lo
	v_cmp_gt_i32_e32 vcc_lo, 31, v28
	v_and_or_b32 v2, 0x8000, v7, v6
	v_lshl_or_b32 v7, v13, 9, 0x7c00
	v_cndmask_b32_e32 v6, 0x7c00, v12, vcc_lo
	v_and_b32_e32 v12, 7, v0
	v_cmp_eq_u32_e32 vcc_lo, 0x40f, v28
	v_lshrrev_b32_e32 v0, 2, v0
	v_and_b32_e32 v2, 0xffff, v2
	v_cmp_eq_u32_e64 s0, 3, v12
	v_cndmask_b32_e32 v11, v6, v7, vcc_lo
	v_cmp_lt_i32_e32 vcc_lo, 5, v12
	v_add_nc_u32_e32 v12, 0xfffffc10, v30
	v_cvt_f32_f16_e32 v6, v36
	v_lshl_or_b32 v2, v10, 16, v2
	s_or_b32 vcc_lo, s0, vcc_lo
	v_lshl_or_b32 v13, v12, 12, v17
	v_add_co_ci_u32_e32 v0, vcc_lo, 0, v0, vcc_lo
	v_cmp_ne_u32_e32 vcc_lo, 0, v4
	v_cvt_f64_f32_e32 v[6:7], v6
	v_cmp_ne_u32_e64 s0, v25, v33
	global_store_dword v[14:15], v2, off
	v_cmp_eq_u32_e64 s1, 0x40f, v12
	v_cndmask_b32_e64 v4, 0, 1, vcc_lo
	v_cmp_gt_i32_e32 vcc_lo, 31, v9
	v_lshl_or_b32 v4, v4, 9, 0x7c00
	v_cndmask_b32_e32 v0, 0x7c00, v0, vcc_lo
	v_cmp_gt_i32_e32 vcc_lo, 1, v12
	v_cndmask_b32_e32 v8, v13, v8, vcc_lo
	v_cmp_eq_u32_e32 vcc_lo, 0x40f, v9
	v_lshrrev_b32_e32 v13, 16, v16
	v_and_b32_e32 v9, 7, v8
	v_cndmask_b32_e32 v0, v0, v4, vcc_lo
	v_lshrrev_b32_e32 v4, 16, v5
	v_cvt_f32_f16_e32 v5, v29
	v_and_or_b32 v10, 0x8000, v13, v11
	v_cmp_lt_i32_e32 vcc_lo, 5, v9
	v_cndmask_b32_e64 v11, 0, 1, s0
	v_and_or_b32 v0, 0x8000, v4, v0
	v_cvt_f64_f32_e32 v[4:5], v5
	v_cmp_eq_u32_e64 s0, 3, v9
	v_mul_f64 v[6:7], v[6:7], s[6:7]
	v_lshrrev_b32_e32 v8, 2, v8
	v_add_nc_u32_e32 v13, 0xfffffc10, v34
	v_and_b32_e32 v9, 0xffff, v10
	s_or_b32 vcc_lo, s0, vcc_lo
	v_or_b32_e32 v10, v26, v11
	v_add_co_ci_u32_e32 v8, vcc_lo, 0, v8, vcc_lo
	v_cmp_ne_u32_e32 vcc_lo, 0, v17
	v_lshl_or_b32 v11, v13, 12, v19
	v_lshl_or_b32 v0, v0, 16, v9
	v_cndmask_b32_e64 v16, 0, 1, vcc_lo
	v_cmp_gt_i32_e32 vcc_lo, 1, v13
	v_cndmask_b32_e32 v10, v11, v10, vcc_lo
	v_mul_f64 v[4:5], v[4:5], s[6:7]
	v_cmp_gt_i32_e32 vcc_lo, 31, v12
	v_lshl_or_b32 v11, v16, 9, 0x7c00
	v_and_or_b32 v6, 0x1ff, v7, v6
	v_and_b32_e32 v16, 7, v10
	v_lshrrev_b32_e32 v10, 2, v10
	v_cndmask_b32_e32 v2, 0x7c00, v8, vcc_lo
	v_add_co_u32 v8, vcc_lo, v14, s3
	v_lshrrev_b32_e32 v14, 16, v3
	v_add_co_ci_u32_e32 v9, vcc_lo, s2, v15, vcc_lo
	v_cndmask_b32_e64 v12, v2, v11, s1
	v_cmp_ne_u32_e64 s1, 0, v6
	v_mul_f16_sdwa v2, v130, v14 dst_sel:DWORD dst_unused:UNUSED_PAD src0_sel:WORD_1 src1_sel:DWORD
	v_cmp_lt_i32_e32 vcc_lo, 5, v16
	v_cmp_eq_u32_e64 s0, 3, v16
	v_lshrrev_b32_e32 v11, 8, v7
	v_cndmask_b32_e64 v6, 0, 1, s1
	v_bfe_u32 v15, v7, 20, 11
	v_fmac_f16_e32 v2, v130, v3
	s_or_b32 vcc_lo, s0, vcc_lo
	v_and_or_b32 v4, 0x1ff, v5, v4
	v_and_or_b32 v6, 0xffe, v11, v6
	v_sub_nc_u32_e32 v11, 0x3f1, v15
	v_cvt_f32_f16_e32 v2, v2
	v_add_co_ci_u32_e32 v17, vcc_lo, 0, v10, vcc_lo
	v_cmp_ne_u32_e32 vcc_lo, 0, v4
	v_med3_i32 v21, v11, 0, 13
	v_cvt_f64_f32_e32 v[10:11], v2
	v_lshrrev_b32_e32 v16, 16, v18
	v_or_b32_e32 v18, 0x1000, v6
	v_cndmask_b32_e64 v2, 0, 1, vcc_lo
	v_cmp_ne_u32_e32 vcc_lo, 0, v19
	v_lshrrev_b32_e32 v4, 8, v5
	v_bfe_u32 v22, v5, 20, 11
	v_lshrrev_b32_e32 v23, v21, v18
	v_add_nc_u32_e32 v15, 0xfffffc10, v15
	v_cndmask_b32_e64 v19, 0, 1, vcc_lo
	v_cmp_gt_i32_e32 vcc_lo, 31, v13
	v_and_or_b32 v4, 0xffe, v4, v2
	v_lshlrev_b32_e32 v21, v21, v23
	v_sub_nc_u32_e32 v2, 0x3f1, v22
	v_lshl_or_b32 v19, v19, 9, 0x7c00
	v_cndmask_b32_e32 v17, 0x7c00, v17, vcc_lo
	v_cmp_eq_u32_e32 vcc_lo, 0x40f, v13
	v_or_b32_e32 v24, 0x1000, v4
	v_med3_i32 v25, v2, 0, 13
	v_and_or_b32 v12, 0x8000, v16, v12
	global_store_dword v[8:9], v0, off
	v_cndmask_b32_e32 v13, v17, v19, vcc_lo
	v_mul_f16_sdwa v19, v130, v3 dst_sel:DWORD dst_unused:UNUSED_PAD src0_sel:WORD_1 src1_sel:DWORD
	v_cmp_ne_u32_e32 vcc_lo, v21, v18
	v_mul_f64 v[2:3], v[10:11], s[6:7]
	v_lshrrev_b32_e32 v17, 16, v20
	v_lshrrev_b32_e32 v20, v25, v24
	v_fma_f16 v10, v130, v14, -v19
	v_cndmask_b32_e64 v18, 0, 1, vcc_lo
	v_cmp_gt_i32_e32 vcc_lo, 1, v15
	v_and_or_b32 v13, 0x8000, v17, v13
	v_lshlrev_b32_e32 v14, v25, v20
	v_cvt_f32_f16_e32 v10, v10
	v_or_b32_e32 v11, v23, v18
	v_lshl_or_b32 v18, v15, 12, v6
	v_and_b32_e32 v12, 0xffff, v12
	v_add_nc_u32_e32 v17, 0xfffffc10, v22
	v_cndmask_b32_e32 v16, v18, v11, vcc_lo
	v_cvt_f64_f32_e32 v[10:11], v10
	v_cmp_ne_u32_e32 vcc_lo, v14, v24
	v_lshl_or_b32 v0, v13, 16, v12
	v_lshl_or_b32 v13, v17, 12, v4
	v_and_b32_e32 v18, 7, v16
	v_cmp_gt_i32_e64 s1, 1, v17
	v_cndmask_b32_e64 v14, 0, 1, vcc_lo
	v_and_or_b32 v2, 0x1ff, v3, v2
	v_cmp_lt_i32_e32 vcc_lo, 5, v18
	v_cmp_eq_u32_e64 s0, 3, v18
	v_or_b32_e32 v12, v20, v14
	v_lshrrev_b32_e32 v14, 2, v16
	v_bfe_u32 v16, v3, 20, 11
	v_lshrrev_b32_e32 v20, 16, v1
	s_or_b32 vcc_lo, s0, vcc_lo
	v_cndmask_b32_e64 v12, v13, v12, s1
	v_add_co_ci_u32_e32 v13, vcc_lo, 0, v14, vcc_lo
	v_cmp_ne_u32_e32 vcc_lo, 0, v2
	v_lshrrev_b32_e32 v14, 8, v3
	v_and_b32_e32 v18, 7, v12
	v_mul_f64 v[10:11], v[10:11], s[6:7]
	v_add_co_u32 v8, s1, v8, s3
	v_cndmask_b32_e64 v2, 0, 1, vcc_lo
	v_cmp_ne_u32_e32 vcc_lo, 0, v6
	v_cmp_eq_u32_e64 s0, 3, v18
	v_add_co_ci_u32_e64 v9, s1, s2, v9, s1
	v_and_or_b32 v2, 0xffe, v14, v2
	v_cndmask_b32_e64 v6, 0, 1, vcc_lo
	v_sub_nc_u32_e32 v14, 0x3f1, v16
	v_cmp_gt_i32_e32 vcc_lo, 31, v15
	v_cmp_eq_u32_e64 s1, 0x40f, v15
	v_lshrrev_b32_e32 v12, 2, v12
	v_lshl_or_b32 v6, v6, 9, 0x7c00
	v_med3_i32 v14, v14, 0, 13
	v_cndmask_b32_e32 v13, 0x7c00, v13, vcc_lo
	v_cmp_lt_i32_e32 vcc_lo, 5, v18
	v_or_b32_e32 v18, 0x1000, v2
	v_lshrrev_b32_e32 v15, 16, v7
	v_add_nc_u32_e32 v16, 0xfffffc10, v16
	v_cndmask_b32_e64 v13, v13, v6, s1
	v_and_or_b32 v10, 0x1ff, v11, v10
	v_lshrrev_b32_e32 v19, v14, v18
	s_or_b32 vcc_lo, s0, vcc_lo
	v_bfe_u32 v21, v11, 20, 11
	v_add_co_ci_u32_e32 v12, vcc_lo, 0, v12, vcc_lo
	v_lshlrev_b32_e32 v6, v14, v19
	v_mul_f16_sdwa v14, v145, v20 dst_sel:DWORD dst_unused:UNUSED_PAD src0_sel:WORD_1 src1_sel:DWORD
	v_cmp_ne_u32_e32 vcc_lo, 0, v10
	v_lshrrev_b32_e32 v10, 8, v11
	v_lshl_or_b32 v22, v16, 12, v2
	global_store_dword v[8:9], v0, off
	v_fmac_f16_e32 v14, v145, v1
	v_cndmask_b32_e64 v7, 0, 1, vcc_lo
	v_cmp_ne_u32_e32 vcc_lo, v6, v18
	v_mul_f16_sdwa v1, v145, v1 dst_sel:DWORD dst_unused:UNUSED_PAD src0_sel:WORD_1 src1_sel:DWORD
	v_and_or_b32 v13, 0x8000, v15, v13
	v_cvt_f32_f16_e32 v14, v14
	v_and_or_b32 v10, 0xffe, v10, v7
	v_cndmask_b32_e64 v18, 0, 1, vcc_lo
	v_cmp_ne_u32_e32 vcc_lo, 0, v4
	v_fma_f16 v0, v145, v20, -v1
	v_cvt_f64_f32_e32 v[6:7], v14
	v_sub_nc_u32_e32 v14, 0x3f1, v21
	v_or_b32_e32 v18, v19, v18
	v_cndmask_b32_e64 v4, 0, 1, vcc_lo
	v_or_b32_e32 v19, 0x1000, v10
	v_cmp_gt_i32_e32 vcc_lo, 31, v17
	v_med3_i32 v14, v14, 0, 13
	v_cvt_f32_f16_e32 v0, v0
	v_lshl_or_b32 v4, v4, 9, 0x7c00
	v_and_b32_e32 v13, 0xffff, v13
	v_cndmask_b32_e32 v12, 0x7c00, v12, vcc_lo
	v_lshrrev_b32_e32 v23, v14, v19
	v_cmp_gt_i32_e32 vcc_lo, 1, v16
	v_lshrrev_b32_e32 v11, 16, v11
	v_lshlrev_b32_e32 v14, v14, v23
	v_cndmask_b32_e32 v18, v22, v18, vcc_lo
	v_cmp_eq_u32_e32 vcc_lo, 0x40f, v17
	v_lshrrev_b32_e32 v17, 16, v5
	v_cmp_ne_u32_e64 s0, v14, v19
	v_and_b32_e32 v22, 7, v18
	v_cndmask_b32_e32 v12, v12, v4, vcc_lo
	v_mul_f64 v[4:5], v[6:7], s[6:7]
	v_lshrrev_b32_e32 v15, 2, v18
	v_cndmask_b32_e64 v1, 0, 1, s0
	v_cmp_lt_i32_e32 vcc_lo, 5, v22
	v_cmp_eq_u32_e64 s0, 3, v22
	v_cvt_f64_f32_e32 v[6:7], v0
	v_add_nc_u32_e32 v14, 0xfffffc10, v21
	v_or_b32_e32 v1, v23, v1
	v_and_or_b32 v12, 0x8000, v17, v12
	s_or_b32 vcc_lo, s0, vcc_lo
	v_add_co_ci_u32_e32 v15, vcc_lo, 0, v15, vcc_lo
	v_lshl_or_b32 v18, v14, 12, v10
	v_cmp_gt_i32_e32 vcc_lo, 1, v14
	v_lshl_or_b32 v19, v12, 16, v13
	v_cndmask_b32_e32 v17, v18, v1, vcc_lo
	v_cmp_ne_u32_e32 vcc_lo, 0, v2
	ds_read2_b32 v[0:1], v124 offset0:116 offset1:241
	v_and_or_b32 v4, 0x1ff, v5, v4
	v_lshrrev_b32_e32 v13, 8, v5
	v_and_b32_e32 v18, 7, v17
	v_cndmask_b32_e64 v2, 0, 1, vcc_lo
	v_cmp_gt_i32_e32 vcc_lo, 31, v16
	v_mul_f64 v[6:7], v[6:7], s[6:7]
	v_lshrrev_b32_e32 v12, 2, v17
	v_cmp_eq_u32_e64 s0, 3, v18
	v_cmp_ne_u32_e64 s1, 0, v4
	v_cndmask_b32_e32 v15, 0x7c00, v15, vcc_lo
	v_cmp_lt_i32_e32 vcc_lo, 5, v18
	v_bfe_u32 v17, v5, 20, 11
	v_lshl_or_b32 v2, v2, 9, 0x7c00
	v_cndmask_b32_e64 v4, 0, 1, s1
	s_or_b32 vcc_lo, s0, vcc_lo
	v_add_co_ci_u32_e32 v12, vcc_lo, 0, v12, vcc_lo
	v_cmp_ne_u32_e32 vcc_lo, 0, v10
	s_waitcnt lgkmcnt(0)
	v_lshrrev_b32_e32 v18, 16, v0
	v_and_or_b32 v4, 0xffe, v13, v4
	v_sub_nc_u32_e32 v13, 0x3f1, v17
	v_cndmask_b32_e64 v10, 0, 1, vcc_lo
	v_cmp_gt_i32_e32 vcc_lo, 31, v14
	v_mul_f16_sdwa v20, v148, v18 dst_sel:DWORD dst_unused:UNUSED_PAD src0_sel:WORD_1 src1_sel:DWORD
	v_or_b32_e32 v21, 0x1000, v4
	v_med3_i32 v13, v13, 0, 13
	v_lshl_or_b32 v10, v10, 9, 0x7c00
	v_cndmask_b32_e32 v12, 0x7c00, v12, vcc_lo
	v_cmp_eq_u32_e32 vcc_lo, 0x40f, v16
	v_fmac_f16_e32 v20, v148, v0
	v_lshrrev_b32_e32 v22, v13, v21
	v_and_or_b32 v6, 0x1ff, v7, v6
	v_lshrrev_b32_e32 v16, 16, v3
	v_cndmask_b32_e32 v15, v15, v2, vcc_lo
	v_cmp_eq_u32_e32 vcc_lo, 0x40f, v14
	v_cvt_f32_f16_e32 v2, v20
	v_lshrrev_b32_e32 v14, 8, v7
	v_mul_f16_sdwa v0, v148, v0 dst_sel:DWORD dst_unused:UNUSED_PAD src0_sel:WORD_1 src1_sel:DWORD
	v_cndmask_b32_e32 v10, v12, v10, vcc_lo
	v_lshlrev_b32_e32 v12, v13, v22
	v_cmp_ne_u32_e32 vcc_lo, 0, v6
	v_cvt_f64_f32_e32 v[2:3], v2
	v_and_or_b32 v13, 0x8000, v16, v15
	v_bfe_u32 v15, v7, 20, 11
	v_add_nc_u32_e32 v16, 0xfffffc10, v17
	v_cndmask_b32_e64 v6, 0, 1, vcc_lo
	v_cmp_ne_u32_e32 vcc_lo, v12, v21
	v_and_or_b32 v17, 0x8000, v11, v10
	v_fma_f16 v0, v148, v18, -v0
	v_lshl_or_b32 v11, v16, 12, v4
	v_and_or_b32 v6, 0xffe, v14, v6
	v_cndmask_b32_e64 v12, 0, 1, vcc_lo
	v_sub_nc_u32_e32 v14, 0x3f1, v15
	v_cmp_gt_i32_e32 vcc_lo, 1, v16
	v_and_b32_e32 v13, 0xffff, v13
	v_or_b32_e32 v20, 0x1000, v6
	v_or_b32_e32 v10, v22, v12
	v_med3_i32 v12, v14, 0, 13
	v_cvt_f32_f16_e32 v0, v0
	v_lshl_or_b32 v18, v17, 16, v13
	v_lshrrev_b32_e32 v7, 16, v7
	v_cndmask_b32_e32 v14, v11, v10, vcc_lo
	v_lshrrev_b32_e32 v21, v12, v20
	v_mul_f64 v[10:11], v[2:3], s[6:7]
	v_add_co_u32 v8, vcc_lo, v8, s5
	v_and_b32_e32 v2, 7, v14
	v_lshlrev_b32_e32 v3, v12, v21
	v_add_co_ci_u32_e32 v9, vcc_lo, s4, v9, vcc_lo
	v_cvt_f64_f32_e32 v[12:13], v0
	v_cmp_lt_i32_e32 vcc_lo, 5, v2
	v_cmp_eq_u32_e64 s0, 3, v2
	v_lshrrev_b32_e32 v2, 2, v14
	v_cmp_ne_u32_e64 s1, v3, v20
	v_add_nc_u32_e32 v14, 0xfffffc10, v15
	global_store_dword v[8:9], v19, off
	s_or_b32 vcc_lo, s0, vcc_lo
	v_add_co_ci_u32_e32 v15, vcc_lo, 0, v2, vcc_lo
	v_cndmask_b32_e64 v0, 0, 1, s1
	v_cmp_ne_u32_e32 vcc_lo, 0, v4
	v_lshl_or_b32 v17, v14, 12, v6
	ds_read2_b32 v[2:3], v210 offset0:86 offset1:211
	v_and_or_b32 v10, 0x1ff, v11, v10
	v_or_b32_e32 v0, v21, v0
	v_cndmask_b32_e64 v4, 0, 1, vcc_lo
	v_cmp_gt_i32_e32 vcc_lo, 1, v14
	v_bfe_u32 v20, v11, 20, 11
	v_mul_f64 v[12:13], v[12:13], s[6:7]
	v_cndmask_b32_e32 v0, v17, v0, vcc_lo
	v_cmp_gt_i32_e32 vcc_lo, 31, v16
	v_lshrrev_b32_e32 v17, 8, v11
	v_lshl_or_b32 v4, v4, 9, 0x7c00
	v_and_b32_e32 v21, 7, v0
	v_cndmask_b32_e32 v15, 0x7c00, v15, vcc_lo
	v_cmp_ne_u32_e32 vcc_lo, 0, v10
	v_lshrrev_b32_e32 v0, 2, v0
	v_cmp_eq_u32_e64 s0, 3, v21
	s_waitcnt lgkmcnt(0)
	v_lshrrev_b32_e32 v22, 16, v2
	v_cndmask_b32_e64 v10, 0, 1, vcc_lo
	v_cmp_lt_i32_e32 vcc_lo, 5, v21
	v_mul_f16_sdwa v23, v164, v22 dst_sel:DWORD dst_unused:UNUSED_PAD src0_sel:WORD_1 src1_sel:DWORD
	v_and_or_b32 v10, 0xffe, v17, v10
	s_or_b32 vcc_lo, s0, vcc_lo
	v_sub_nc_u32_e32 v17, 0x3f1, v20
	v_add_co_ci_u32_e32 v0, vcc_lo, 0, v0, vcc_lo
	v_cmp_eq_u32_e32 vcc_lo, 0x40f, v16
	v_or_b32_e32 v21, 0x1000, v10
	v_med3_i32 v17, v17, 0, 13
	v_fmac_f16_e32 v23, v164, v2
	v_and_or_b32 v12, 0x1ff, v13, v12
	v_cndmask_b32_e32 v15, v15, v4, vcc_lo
	v_cmp_ne_u32_e32 vcc_lo, 0, v6
	v_lshrrev_b32_e32 v24, v17, v21
	v_cvt_f32_f16_e32 v16, v23
	v_bfe_u32 v23, v13, 20, 11
	v_add_nc_u32_e32 v20, 0xfffffc10, v20
	v_cndmask_b32_e64 v4, 0, 1, vcc_lo
	v_cmp_gt_i32_e32 vcc_lo, 31, v14
	v_lshlrev_b32_e32 v6, v17, v24
	v_lshrrev_b32_e32 v17, 16, v5
	v_mul_f16_sdwa v2, v164, v2 dst_sel:DWORD dst_unused:UNUSED_PAD src0_sel:WORD_1 src1_sel:DWORD
	v_lshl_or_b32 v4, v4, 9, 0x7c00
	v_cndmask_b32_e32 v0, 0x7c00, v0, vcc_lo
	v_cmp_eq_u32_e32 vcc_lo, 0x40f, v14
	v_lshrrev_b32_e32 v14, 8, v13
	v_fma_f16 v2, v164, v22, -v2
	v_add_nc_u32_e32 v19, 0xfffffc10, v23
	v_cndmask_b32_e32 v0, v0, v4, vcc_lo
	v_cvt_f64_f32_e32 v[4:5], v16
	v_cmp_ne_u32_e32 vcc_lo, 0, v12
	v_lshl_or_b32 v16, v20, 12, v10
	v_cvt_f32_f16_e32 v2, v2
	v_and_or_b32 v0, 0x8000, v7, v0
	v_cndmask_b32_e64 v12, 0, 1, vcc_lo
	v_cmp_ne_u32_e32 vcc_lo, v6, v21
	v_and_or_b32 v12, 0xffe, v14, v12
	v_cndmask_b32_e64 v6, 0, 1, vcc_lo
	v_sub_nc_u32_e32 v14, 0x3f1, v23
	v_cmp_gt_i32_e32 vcc_lo, 1, v20
	v_or_b32_e32 v21, 0x1000, v12
	v_or_b32_e32 v6, v24, v6
	v_med3_i32 v24, v14, 0, 13
	v_and_or_b32 v14, 0x8000, v17, v15
	v_cndmask_b32_e32 v22, v16, v6, vcc_lo
	v_mul_f64 v[6:7], v[4:5], s[6:7]
	v_lshrrev_b32_e32 v25, v24, v21
	v_add_co_u32 v16, vcc_lo, v8, s3
	v_and_b32_e32 v4, 7, v22
	v_and_b32_e32 v26, 0xffff, v14
	v_cvt_f64_f32_e32 v[14:15], v2
	v_lshlrev_b32_e32 v2, v24, v25
	v_add_co_ci_u32_e32 v17, vcc_lo, s2, v9, vcc_lo
	v_cmp_lt_i32_e32 vcc_lo, 5, v4
	v_cmp_eq_u32_e64 s0, 3, v4
	v_lshrrev_b32_e32 v8, 2, v22
	v_cmp_ne_u32_e64 s1, v2, v21
	ds_read2_b32 v[4:5], v209 offset0:56 offset1:181
	v_lshl_or_b32 v0, v0, 16, v26
	s_or_b32 vcc_lo, s0, vcc_lo
	v_add_co_ci_u32_e32 v21, vcc_lo, 0, v8, vcc_lo
	v_cndmask_b32_e64 v2, 0, 1, s1
	v_cmp_ne_u32_e32 vcc_lo, 0, v10
	v_lshl_or_b32 v8, v19, 12, v12
	v_and_or_b32 v6, 0x1ff, v7, v6
	v_or_b32_e32 v2, v25, v2
	v_cndmask_b32_e64 v10, 0, 1, vcc_lo
	v_cmp_gt_i32_e32 vcc_lo, 1, v19
	v_lshl_or_b32 v10, v10, 9, 0x7c00
	v_cndmask_b32_e32 v2, v8, v2, vcc_lo
	v_cmp_ne_u32_e32 vcc_lo, 0, v6
	v_mul_f64 v[8:9], v[14:15], s[6:7]
	v_lshrrev_b32_e32 v14, 8, v7
	v_and_b32_e32 v22, 7, v2
	v_cndmask_b32_e64 v6, 0, 1, vcc_lo
	v_cmp_gt_i32_e32 vcc_lo, 31, v20
	v_lshrrev_b32_e32 v2, 2, v2
	v_cmp_eq_u32_e64 s0, 3, v22
	v_and_or_b32 v6, 0xffe, v14, v6
	v_cndmask_b32_e32 v15, 0x7c00, v21, vcc_lo
	v_cmp_eq_u32_e32 vcc_lo, 0x40f, v20
	v_bfe_u32 v21, v7, 20, 11
	s_waitcnt lgkmcnt(0)
	v_lshrrev_b32_e32 v14, 16, v4
	v_or_b32_e32 v20, 0x1000, v6
	v_cndmask_b32_e32 v15, v15, v10, vcc_lo
	v_cmp_lt_i32_e32 vcc_lo, 5, v22
	v_sub_nc_u32_e32 v23, 0x3f1, v21
	v_mul_f16_sdwa v10, v169, v14 dst_sel:DWORD dst_unused:UNUSED_PAD src0_sel:WORD_1 src1_sel:DWORD
	v_lshrrev_b32_e32 v22, 16, v11
	s_or_b32 vcc_lo, s0, vcc_lo
	v_med3_i32 v23, v23, 0, 13
	v_add_co_ci_u32_e32 v2, vcc_lo, 0, v2, vcc_lo
	v_cmp_ne_u32_e32 vcc_lo, 0, v12
	v_and_or_b32 v8, 0x1ff, v9, v8
	v_lshrrev_b32_e32 v24, v23, v20
	v_lshrrev_b32_e32 v25, 8, v9
	v_bfe_u32 v26, v9, 20, 11
	v_cndmask_b32_e64 v12, 0, 1, vcc_lo
	v_cmp_gt_i32_e32 vcc_lo, 31, v19
	v_lshlrev_b32_e32 v23, v23, v24
	v_fmac_f16_e32 v10, v169, v4
	v_and_or_b32 v22, 0x8000, v22, v15
	v_lshl_or_b32 v12, v12, 9, 0x7c00
	v_cndmask_b32_e32 v2, 0x7c00, v2, vcc_lo
	v_cmp_ne_u32_e32 vcc_lo, 0, v8
	v_mul_f16_sdwa v4, v169, v4 dst_sel:DWORD dst_unused:UNUSED_PAD src0_sel:WORD_1 src1_sel:DWORD
	v_cvt_f32_f16_e32 v10, v10
	v_cndmask_b32_e64 v8, 0, 1, vcc_lo
	v_cmp_ne_u32_e32 vcc_lo, v23, v20
	v_sub_nc_u32_e32 v20, 0x3f1, v26
	v_fma_f16 v4, v169, v14, -v4
	v_lshrrev_b32_e32 v23, 16, v13
	v_and_or_b32 v8, 0xffe, v25, v8
	v_cndmask_b32_e64 v15, 0, 1, vcc_lo
	v_cmp_eq_u32_e32 vcc_lo, 0x40f, v19
	v_add_nc_u32_e32 v19, 0xfffffc10, v21
	v_med3_i32 v20, v20, 0, 13
	v_or_b32_e32 v21, 0x1000, v8
	v_cvt_f32_f16_e32 v4, v4
	v_cndmask_b32_e32 v2, v2, v12, vcc_lo
	v_or_b32_e32 v12, v24, v15
	v_lshl_or_b32 v14, v19, 12, v6
	v_lshrrev_b32_e32 v24, v20, v21
	v_cmp_gt_i32_e32 vcc_lo, 1, v19
	v_cvt_f64_f32_e32 v[10:11], v10
	v_and_or_b32 v2, 0x8000, v23, v2
	v_lshlrev_b32_e32 v20, v20, v24
	v_cndmask_b32_e32 v25, v14, v12, vcc_lo
	v_add_co_u32 v14, vcc_lo, v16, s3
	v_add_co_ci_u32_e32 v15, vcc_lo, s2, v17, vcc_lo
	v_cvt_f64_f32_e32 v[12:13], v4
	v_and_b32_e32 v4, 0xffff, v22
	v_and_b32_e32 v22, 7, v25
	v_cmp_ne_u32_e32 vcc_lo, v20, v21
	global_store_dword v[16:17], v18, off
	global_store_dword v[14:15], v0, off
	v_lshrrev_b32_e32 v16, 2, v25
	v_lshl_or_b32 v2, v2, 16, v4
	v_cmp_eq_u32_e64 s0, 3, v22
	v_cndmask_b32_e64 v0, 0, 1, vcc_lo
	v_cmp_lt_i32_e32 vcc_lo, 5, v22
	buffer_load_dword v22, off, s[20:23], 0 offset:108 ; 4-byte Folded Reload
	v_add_nc_u32_e32 v4, 0xfffffc10, v26
	v_lshrrev_b32_e32 v25, 16, v7
	v_mul_f64 v[10:11], v[10:11], s[6:7]
	s_or_b32 vcc_lo, s0, vcc_lo
	v_or_b32_e32 v0, v24, v0
	v_add_co_ci_u32_e32 v16, vcc_lo, 0, v16, vcc_lo
	v_cmp_ne_u32_e32 vcc_lo, 0, v6
	v_lshl_or_b32 v17, v4, 12, v8
	v_mul_f64 v[12:13], v[12:13], s[6:7]
	v_cndmask_b32_e64 v6, 0, 1, vcc_lo
	v_cmp_gt_i32_e32 vcc_lo, 1, v4
	v_lshl_or_b32 v6, v6, 9, 0x7c00
	v_cndmask_b32_e32 v0, v17, v0, vcc_lo
	v_and_b32_e32 v20, 7, v0
	v_and_or_b32 v10, 0x1ff, v11, v10
	v_lshrrev_b32_e32 v17, 8, v11
	v_bfe_u32 v18, v11, 20, 11
	v_lshrrev_b32_e32 v0, 2, v0
	v_cmp_eq_u32_e64 s0, 3, v20
	v_cmp_ne_u32_e32 vcc_lo, 0, v10
	v_lshrrev_b32_e32 v11, 16, v11
	v_and_or_b32 v12, 0x1ff, v13, v12
	v_cndmask_b32_e64 v10, 0, 1, vcc_lo
	v_cmp_gt_i32_e32 vcc_lo, 31, v19
	v_bfe_u32 v23, v13, 20, 11
	v_and_or_b32 v10, 0xffe, v17, v10
	v_cndmask_b32_e32 v16, 0x7c00, v16, vcc_lo
	v_add_co_u32 v14, vcc_lo, v14, s5
	v_sub_nc_u32_e32 v17, 0x3f1, v18
	v_add_co_ci_u32_e32 v15, vcc_lo, s4, v15, vcc_lo
	v_cmp_eq_u32_e32 vcc_lo, 0x40f, v19
	v_or_b32_e32 v21, 0x1000, v10
	v_med3_i32 v17, v17, 0, 13
	v_add_nc_u32_e32 v18, 0xfffffc10, v18
	global_store_dword v[14:15], v2, off
	v_cndmask_b32_e32 v19, v16, v6, vcc_lo
	v_cmp_lt_i32_e32 vcc_lo, 5, v20
	v_lshrrev_b32_e32 v6, 16, v1
	v_lshrrev_b32_e32 v16, v17, v21
	s_or_b32 vcc_lo, s0, vcc_lo
	v_add_co_ci_u32_e32 v0, vcc_lo, 0, v0, vcc_lo
	v_lshlrev_b32_e32 v17, v17, v16
	v_cmp_ne_u32_e32 vcc_lo, 0, v12
	v_cndmask_b32_e64 v12, 0, 1, vcc_lo
	v_cmp_ne_u32_e32 vcc_lo, v17, v21
	v_sub_nc_u32_e32 v21, 0x3f1, v23
	v_cndmask_b32_e64 v17, 0, 1, vcc_lo
	v_cmp_ne_u32_e32 vcc_lo, 0, v8
	v_med3_i32 v21, v21, 0, 13
	v_cndmask_b32_e64 v8, 0, 1, vcc_lo
	v_cmp_gt_i32_e32 vcc_lo, 1, v18
	v_lshl_or_b32 v8, v8, 9, 0x7c00
	s_waitcnt vmcnt(0)
	v_mul_f16_sdwa v20, v22, v6 dst_sel:DWORD dst_unused:UNUSED_PAD src0_sel:WORD_1 src1_sel:DWORD
	v_mov_b32_e32 v27, v22
	v_fmac_f16_e32 v20, v22, v1
	v_lshrrev_b32_e32 v22, 8, v13
	v_mul_f16_sdwa v1, v27, v1 dst_sel:DWORD dst_unused:UNUSED_PAD src0_sel:WORD_1 src1_sel:DWORD
	v_lshrrev_b32_e32 v13, 16, v13
	v_cvt_f32_f16_e32 v20, v20
	v_and_or_b32 v12, 0xffe, v22, v12
	v_or_b32_e32 v22, v16, v17
	v_fma_f16 v1, v27, v6, -v1
	v_cvt_f64_f32_e32 v[16:17], v20
	v_lshl_or_b32 v20, v18, 12, v10
	v_or_b32_e32 v24, 0x1000, v12
	v_cvt_f32_f16_e32 v6, v1
	v_cndmask_b32_e32 v20, v20, v22, vcc_lo
	v_lshrrev_b32_e32 v22, v21, v24
	v_cmp_gt_i32_e32 vcc_lo, 31, v4
	v_cvt_f64_f32_e32 v[6:7], v6
	v_and_b32_e32 v26, 7, v20
	v_lshlrev_b32_e32 v21, v21, v22
	v_cndmask_b32_e32 v0, 0x7c00, v0, vcc_lo
	v_cmp_eq_u32_e32 vcc_lo, 0x40f, v4
	v_cmp_ne_u32_e64 s0, v21, v24
	buffer_load_dword v21, off, s[20:23], 0 offset:72 ; 4-byte Folded Reload
	v_cndmask_b32_e32 v4, v0, v8, vcc_lo
	v_lshrrev_b32_e32 v8, 16, v9
	v_cmp_lt_i32_e32 vcc_lo, 5, v26
	v_cndmask_b32_e64 v9, 0, 1, s0
	v_cmp_eq_u32_e64 s0, 3, v26
	v_mul_f64 v[0:1], v[16:17], s[6:7]
	v_and_or_b32 v17, 0x8000, v25, v19
	v_lshrrev_b32_e32 v19, 2, v20
	v_add_nc_u32_e32 v16, 0xfffffc10, v23
	buffer_load_dword v23, off, s[20:23], 0 offset:56 ; 4-byte Folded Reload
	s_or_b32 vcc_lo, s0, vcc_lo
	v_or_b32_e32 v9, v22, v9
	v_add_co_ci_u32_e32 v19, vcc_lo, 0, v19, vcc_lo
	v_cmp_ne_u32_e32 vcc_lo, 0, v10
	v_lshl_or_b32 v20, v16, 12, v12
	v_and_or_b32 v4, 0x8000, v8, v4
	v_and_b32_e32 v8, 0xffff, v17
	v_mul_f64 v[6:7], v[6:7], s[6:7]
	v_cndmask_b32_e64 v10, 0, 1, vcc_lo
	v_cmp_gt_i32_e32 vcc_lo, 1, v16
	v_lshl_or_b32 v10, v10, 9, 0x7c00
	v_cndmask_b32_e32 v9, v20, v9, vcc_lo
	v_cmp_gt_i32_e32 vcc_lo, 31, v18
	v_and_or_b32 v0, 0x1ff, v1, v0
	v_and_b32_e32 v2, 7, v9
	v_cndmask_b32_e32 v17, 0x7c00, v19, vcc_lo
	v_cmp_eq_u32_e32 vcc_lo, 0x40f, v18
	v_lshl_or_b32 v19, v4, 16, v8
	v_cmp_ne_u32_e64 s1, 0, v0
	v_cmp_eq_u32_e64 s0, 3, v2
	v_lshrrev_b32_e32 v8, 8, v1
	v_cndmask_b32_e32 v4, v17, v10, vcc_lo
	v_cmp_lt_i32_e32 vcc_lo, 5, v2
	v_lshrrev_b32_e32 v2, 2, v9
	v_cndmask_b32_e64 v0, 0, 1, s1
	v_bfe_u32 v10, v1, 20, 11
	v_lshrrev_b32_e32 v17, 16, v3
	s_or_b32 vcc_lo, s0, vcc_lo
	v_and_or_b32 v6, 0x1ff, v7, v6
	v_add_co_ci_u32_e32 v2, vcc_lo, 0, v2, vcc_lo
	v_cmp_ne_u32_e32 vcc_lo, 0, v12
	v_and_or_b32 v0, 0xffe, v8, v0
	v_sub_nc_u32_e32 v8, 0x3f1, v10
	v_and_or_b32 v4, 0x8000, v11, v4
	v_cndmask_b32_e64 v9, 0, 1, vcc_lo
	v_cmp_gt_i32_e32 vcc_lo, 31, v16
	v_or_b32_e32 v18, 0x1000, v0
	v_med3_i32 v20, v8, 0, 13
	v_and_b32_e32 v4, 0xffff, v4
	v_lshl_or_b32 v8, v9, 9, 0x7c00
	v_cndmask_b32_e32 v2, 0x7c00, v2, vcc_lo
	v_cmp_eq_u32_e32 vcc_lo, 0x40f, v16
	v_bfe_u32 v16, v7, 20, 11
	v_cndmask_b32_e32 v2, v2, v8, vcc_lo
	v_cmp_ne_u32_e32 vcc_lo, 0, v6
	v_sub_nc_u32_e32 v11, 0x3f1, v16
	v_and_or_b32 v13, 0x8000, v13, v2
	v_cndmask_b32_e64 v6, 0, 1, vcc_lo
	v_med3_i32 v11, v11, 0, 13
	s_waitcnt vmcnt(1)
	v_mul_f16_sdwa v12, v21, v17 dst_sel:DWORD dst_unused:UNUSED_PAD src0_sel:WORD_1 src1_sel:DWORD
	v_mov_b32_e32 v22, v21
	v_fmac_f16_e32 v12, v21, v3
	v_lshrrev_b32_e32 v21, v20, v18
	v_mul_f16_sdwa v3, v22, v3 dst_sel:DWORD dst_unused:UNUSED_PAD src0_sel:WORD_1 src1_sel:DWORD
	v_cvt_f32_f16_e32 v9, v12
	v_lshrrev_b32_e32 v12, 8, v7
	v_lshlrev_b32_e32 v20, v20, v21
	v_fma_f16 v17, v22, v17, -v3
	v_lshrrev_b32_e32 v22, 16, v5
	v_cvt_f64_f32_e32 v[8:9], v9
	v_and_or_b32 v6, 0xffe, v12, v6
	v_cmp_ne_u32_e32 vcc_lo, v20, v18
	v_add_nc_u32_e32 v18, 0xfffffc10, v10
	v_cvt_f32_f16_e32 v17, v17
	v_or_b32_e32 v10, 0x1000, v6
	v_cndmask_b32_e64 v12, 0, 1, vcc_lo
	v_lshl_or_b32 v20, v18, 12, v0
	v_cmp_gt_i32_e32 vcc_lo, 1, v18
	v_or_b32_e32 v12, v21, v12
	v_lshrrev_b32_e32 v21, v11, v10
	v_cndmask_b32_e32 v12, v20, v12, vcc_lo
	v_lshlrev_b32_e32 v11, v11, v21
	v_mul_f64 v[2:3], v[8:9], s[6:7]
	v_add_co_u32 v8, vcc_lo, v14, s3
	v_add_co_ci_u32_e32 v9, vcc_lo, s2, v15, vcc_lo
	v_and_b32_e32 v20, 7, v12
	v_cmp_ne_u32_e32 vcc_lo, v11, v10
	v_add_nc_u32_e32 v15, 0xfffffc10, v16
	v_lshl_or_b32 v16, v13, 16, v4
	v_lshrrev_b32_e32 v4, 2, v12
	v_cmp_eq_u32_e64 s0, 3, v20
	v_cndmask_b32_e64 v14, 0, 1, vcc_lo
	v_cmp_lt_i32_e32 vcc_lo, 5, v20
	v_cvt_f64_f32_e32 v[10:11], v17
	v_lshl_or_b32 v17, v15, 12, v6
	global_store_dword v[8:9], v19, off
	v_or_b32_e32 v14, v21, v14
	s_or_b32 vcc_lo, s0, vcc_lo
	v_add_co_ci_u32_e32 v4, vcc_lo, 0, v4, vcc_lo
	v_cmp_ne_u32_e32 vcc_lo, 0, v0
	v_and_or_b32 v2, 0x1ff, v3, v2
	v_lshrrev_b32_e32 v20, 8, v3
	v_bfe_u32 v21, v3, 20, 11
	v_lshrrev_b32_e32 v3, 16, v3
	v_cndmask_b32_e64 v0, 0, 1, vcc_lo
	v_add_co_u32 v12, vcc_lo, v8, s3
	v_add_co_ci_u32_e32 v13, vcc_lo, s2, v9, vcc_lo
	v_cmp_gt_i32_e32 vcc_lo, 1, v15
	v_lshl_or_b32 v0, v0, 9, 0x7c00
	global_store_dword v[12:13], v16, off
	v_mul_f64 v[10:11], v[10:11], s[6:7]
	v_cndmask_b32_e32 v14, v17, v14, vcc_lo
	v_cmp_gt_i32_e32 vcc_lo, 31, v18
	v_and_b32_e32 v17, 7, v14
	v_cndmask_b32_e32 v4, 0x7c00, v4, vcc_lo
	v_cmp_ne_u32_e32 vcc_lo, 0, v2
	v_cmp_eq_u32_e64 s0, 3, v17
	v_cndmask_b32_e64 v2, 0, 1, vcc_lo
	v_cmp_eq_u32_e32 vcc_lo, 0x40f, v18
	v_lshrrev_b32_e32 v18, 16, v1
	v_sub_nc_u32_e32 v1, 0x3f1, v21
	v_and_or_b32 v20, 0xffe, v20, v2
	v_cndmask_b32_e32 v4, v4, v0, vcc_lo
	v_cmp_lt_i32_e32 vcc_lo, 5, v17
	v_lshrrev_b32_e32 v2, 2, v14
	v_and_or_b32 v10, 0x1ff, v11, v10
	v_lshrrev_b32_e32 v24, 8, v11
	v_or_b32_e32 v14, 0x1000, v20
	s_or_b32 vcc_lo, s0, vcc_lo
	v_med3_i32 v17, v1, 0, 13
	v_add_co_ci_u32_e32 v2, vcc_lo, 0, v2, vcc_lo
	v_cmp_ne_u32_e32 vcc_lo, 0, v6
	v_bfe_u32 v25, v11, 20, 11
	v_and_or_b32 v18, 0x8000, v18, v4
	v_cndmask_b32_e64 v6, 0, 1, vcc_lo
	v_cmp_gt_i32_e32 vcc_lo, 31, v15
	v_lshl_or_b32 v6, v6, 9, 0x7c00
	v_cndmask_b32_e32 v2, 0x7c00, v2, vcc_lo
	v_cmp_ne_u32_e32 vcc_lo, 0, v10
	v_cndmask_b32_e64 v10, 0, 1, vcc_lo
	v_and_or_b32 v10, 0xffe, v24, v10
	buffer_load_dword v24, off, s[20:23], 0 offset:44 ; 4-byte Folded Reload
	s_waitcnt vmcnt(1)
	v_mul_f16_sdwa v0, v23, v22 dst_sel:DWORD dst_unused:UNUSED_PAD src0_sel:WORD_1 src1_sel:DWORD
	v_mov_b32_e32 v26, v23
	v_fmac_f16_e32 v0, v23, v5
	v_lshrrev_b32_e32 v23, v17, v14
	v_cvt_f32_f16_e32 v0, v0
	v_lshlrev_b32_e32 v17, v17, v23
	v_cvt_f64_f32_e32 v[0:1], v0
	v_cmp_ne_u32_e32 vcc_lo, v17, v14
	v_sub_nc_u32_e32 v14, 0x3f1, v25
	v_add_nc_u32_e32 v17, 0xfffffc10, v21
	v_mul_f16_sdwa v21, v26, v5 dst_sel:DWORD dst_unused:UNUSED_PAD src0_sel:WORD_1 src1_sel:DWORD
	v_cndmask_b32_e64 v4, 0, 1, vcc_lo
	v_cmp_eq_u32_e32 vcc_lo, 0x40f, v15
	v_or_b32_e32 v15, 0x1000, v10
	v_med3_i32 v14, v14, 0, 13
	v_cndmask_b32_e32 v2, v2, v6, vcc_lo
	v_or_b32_e32 v6, v23, v4
	v_lshl_or_b32 v23, v17, 12, v20
	v_cmp_gt_i32_e32 vcc_lo, 1, v17
	v_mul_f64 v[4:5], v[0:1], s[6:7]
	v_fma_f16 v1, v26, v22, -v21
	v_lshrrev_b32_e32 v21, v14, v15
	v_lshrrev_b32_e32 v0, 16, v7
	v_cndmask_b32_e32 v22, v23, v6, vcc_lo
	v_cvt_f32_f16_e32 v1, v1
	v_lshlrev_b32_e32 v14, v14, v21
	v_and_or_b32 v0, 0x8000, v0, v2
	v_and_b32_e32 v2, 0xffff, v18
	v_and_b32_e32 v18, 7, v22
	v_cvt_f64_f32_e32 v[6:7], v1
	v_cmp_ne_u32_e32 vcc_lo, v14, v15
	v_add_nc_u32_e32 v14, 0xfffffc10, v25
	v_lshl_or_b32 v0, v0, 16, v2
	v_cmp_eq_u32_e64 s0, 3, v18
	v_lshrrev_b32_e32 v2, 2, v22
	v_cndmask_b32_e64 v1, 0, 1, vcc_lo
	v_cmp_lt_i32_e32 vcc_lo, 5, v18
	v_lshl_or_b32 v9, v14, 12, v10
	v_or_b32_e32 v8, v21, v1
	s_or_b32 vcc_lo, s0, vcc_lo
	v_and_or_b32 v4, 0x1ff, v5, v4
	v_add_co_ci_u32_e32 v15, vcc_lo, 0, v2, vcc_lo
	v_cmp_ne_u32_e32 vcc_lo, 0, v20
	ds_read2_b32 v[1:2], v128 offset0:110 offset1:235
	v_lshrrev_b32_e32 v20, 8, v5
	v_bfe_u32 v21, v5, 20, 11
	v_cndmask_b32_e64 v18, 0, 1, vcc_lo
	v_cmp_gt_i32_e32 vcc_lo, 1, v14
	v_mul_f64 v[6:7], v[6:7], s[6:7]
	v_lshl_or_b32 v18, v18, 9, 0x7c00
	v_cndmask_b32_e32 v19, v9, v8, vcc_lo
	v_cmp_ne_u32_e32 vcc_lo, 0, v4
	v_and_b32_e32 v22, 7, v19
	v_cndmask_b32_e64 v4, 0, 1, vcc_lo
	v_cmp_gt_i32_e32 vcc_lo, 31, v17
	v_cmp_eq_u32_e64 s0, 3, v22
	v_and_or_b32 v20, 0xffe, v20, v4
	v_cndmask_b32_e32 v15, 0x7c00, v15, vcc_lo
	v_add_co_u32 v8, vcc_lo, v12, s5
	v_add_co_ci_u32_e32 v9, vcc_lo, s4, v13, vcc_lo
	v_cmp_eq_u32_e32 vcc_lo, 0x40f, v17
	v_sub_nc_u32_e32 v4, 0x3f1, v21
	s_waitcnt lgkmcnt(0)
	v_lshrrev_b32_e32 v17, 16, v1
	v_and_or_b32 v6, 0x1ff, v7, v6
	v_bfe_u32 v25, v7, 20, 11
	v_cndmask_b32_e32 v15, v15, v18, vcc_lo
	v_cmp_lt_i32_e32 vcc_lo, 5, v22
	v_or_b32_e32 v18, 0x1000, v20
	v_med3_i32 v23, v4, 0, 13
	v_add_nc_u32_e32 v21, 0xfffffc10, v21
	v_and_or_b32 v15, 0x8000, v3, v15
	v_lshrrev_b32_e32 v3, 2, v19
	s_or_b32 vcc_lo, s0, vcc_lo
	v_lshrrev_b32_e32 v19, v23, v18
	global_store_dword v[8:9], v0, off
	v_and_b32_e32 v15, 0xffff, v15
	v_add_co_ci_u32_e32 v22, vcc_lo, 0, v3, vcc_lo
	v_cmp_ne_u32_e32 vcc_lo, 0, v10
	v_lshlrev_b32_e32 v23, v23, v19
	v_add_nc_u32_e32 v16, 0xfffffc10, v25
	v_cndmask_b32_e64 v10, 0, 1, vcc_lo
	v_cmp_ne_u32_e32 vcc_lo, 0, v6
	v_lshl_or_b32 v10, v10, 9, 0x7c00
	v_cndmask_b32_e64 v6, 0, 1, vcc_lo
	v_cmp_gt_i32_e32 vcc_lo, 31, v14
	v_cndmask_b32_e32 v22, 0x7c00, v22, vcc_lo
	v_cmp_ne_u32_e32 vcc_lo, v23, v18
	v_cndmask_b32_e64 v18, 0, 1, vcc_lo
	v_cmp_eq_u32_e32 vcc_lo, 0x40f, v14
	v_or_b32_e32 v18, v19, v18
	v_lshl_or_b32 v19, v21, 12, v20
	v_cndmask_b32_e32 v14, v22, v10, vcc_lo
	v_cmp_gt_i32_e32 vcc_lo, 1, v21
	v_lshrrev_b32_e32 v22, 16, v11
	v_cndmask_b32_e32 v18, v19, v18, vcc_lo
	v_and_or_b32 v14, 0x8000, v22, v14
	s_waitcnt vmcnt(0)
	v_mul_f16_sdwa v4, v24, v17 dst_sel:DWORD dst_unused:UNUSED_PAD src0_sel:WORD_1 src1_sel:DWORD
	v_mov_b32_e32 v26, v24
	v_fmac_f16_e32 v4, v24, v1
	v_lshrrev_b32_e32 v24, 8, v7
	v_mul_f16_sdwa v1, v26, v1 dst_sel:DWORD dst_unused:UNUSED_PAD src0_sel:WORD_1 src1_sel:DWORD
	v_lshrrev_b32_e32 v7, 16, v7
	v_cvt_f32_f16_e32 v3, v4
	v_and_or_b32 v6, 0xffe, v24, v6
	v_sub_nc_u32_e32 v24, 0x3f1, v25
	v_fma_f16 v1, v26, v17, -v1
	v_cvt_f64_f32_e32 v[3:4], v3
	v_or_b32_e32 v23, 0x1000, v6
	v_med3_i32 v24, v24, 0, 13
	v_cvt_f32_f16_e32 v1, v1
	v_lshl_or_b32 v13, v16, 12, v6
	v_lshrrev_b32_e32 v17, v24, v23
	v_lshlrev_b32_e32 v19, v24, v17
	buffer_load_dword v24, off, s[20:23], 0 offset:40 ; 4-byte Folded Reload
	v_cmp_ne_u32_e32 vcc_lo, v19, v23
	v_lshl_or_b32 v19, v14, 16, v15
	v_mul_f64 v[10:11], v[3:4], s[6:7]
	v_cvt_f64_f32_e32 v[3:4], v1
	v_and_b32_e32 v1, 7, v18
	v_cndmask_b32_e64 v0, 0, 1, vcc_lo
	v_cmp_lt_i32_e32 vcc_lo, 5, v1
	v_cmp_eq_u32_e64 s0, 3, v1
	v_lshrrev_b32_e32 v1, 2, v18
	v_or_b32_e32 v12, v17, v0
	s_or_b32 vcc_lo, s0, vcc_lo
	v_add_co_ci_u32_e32 v14, vcc_lo, 0, v1, vcc_lo
	v_cmp_ne_u32_e32 vcc_lo, 0, v20
	ds_read2_b32 v[0:1], v139 offset0:80 offset1:205
	v_cndmask_b32_e64 v15, 0, 1, vcc_lo
	v_cmp_gt_i32_e32 vcc_lo, 1, v16
	v_and_or_b32 v10, 0x1ff, v11, v10
	v_lshl_or_b32 v15, v15, 9, 0x7c00
	v_cndmask_b32_e32 v17, v13, v12, vcc_lo
	v_mul_f64 v[12:13], v[3:4], s[6:7]
	v_cmp_ne_u32_e32 vcc_lo, 0, v10
	v_lshrrev_b32_e32 v4, 8, v11
	v_bfe_u32 v10, v11, 20, 11
	v_and_b32_e32 v18, 7, v17
	v_cndmask_b32_e64 v3, 0, 1, vcc_lo
	v_cmp_gt_i32_e32 vcc_lo, 31, v21
	v_cmp_eq_u32_e64 s0, 3, v18
	s_waitcnt lgkmcnt(0)
	v_lshrrev_b32_e32 v23, 16, v0
	v_and_or_b32 v20, 0xffe, v4, v3
	v_sub_nc_u32_e32 v3, 0x3f1, v10
	v_cndmask_b32_e32 v14, 0x7c00, v14, vcc_lo
	v_add_co_u32 v8, vcc_lo, v8, s3
	v_add_co_ci_u32_e32 v9, vcc_lo, s2, v9, vcc_lo
	v_or_b32_e32 v22, 0x1000, v20
	v_med3_i32 v3, v3, 0, 13
	v_cmp_eq_u32_e32 vcc_lo, 0x40f, v21
	v_add_nc_u32_e32 v10, 0xfffffc10, v10
	v_and_or_b32 v12, 0x1ff, v13, v12
	global_store_dword v[8:9], v19, off
	v_cndmask_b32_e32 v21, v14, v15, vcc_lo
	v_lshrrev_b32_e32 v14, v3, v22
	v_cmp_lt_i32_e32 vcc_lo, 5, v18
	v_lshrrev_b32_e32 v15, 2, v17
	v_cmp_ne_u32_e64 s1, 0, v12
	v_lshrrev_b32_e32 v12, 8, v13
	v_lshlrev_b32_e32 v17, v3, v14
	s_or_b32 vcc_lo, s0, vcc_lo
	v_bfe_u32 v18, v13, 20, 11
	v_add_co_ci_u32_e32 v15, vcc_lo, 0, v15, vcc_lo
	v_cndmask_b32_e64 v3, 0, 1, s1
	v_cmp_ne_u32_e32 vcc_lo, v17, v22
	v_cmp_eq_u32_e64 s1, 0x40f, v10
	v_lshrrev_b32_e32 v13, 16, v13
	v_and_or_b32 v12, 0xffe, v12, v3
	v_cndmask_b32_e64 v17, 0, 1, vcc_lo
	v_cmp_ne_u32_e32 vcc_lo, 0, v6
	v_or_b32_e32 v22, 0x1000, v12
	v_or_b32_e32 v14, v14, v17
	v_cndmask_b32_e64 v6, 0, 1, vcc_lo
	v_cmp_gt_i32_e32 vcc_lo, 31, v16
	v_lshl_or_b32 v17, v10, 12, v20
	v_lshl_or_b32 v6, v6, 9, 0x7c00
	v_cndmask_b32_e32 v15, 0x7c00, v15, vcc_lo
	v_cmp_gt_i32_e32 vcc_lo, 1, v10
	v_cndmask_b32_e32 v17, v17, v14, vcc_lo
	v_cmp_eq_u32_e32 vcc_lo, 0x40f, v16
	v_cndmask_b32_e32 v16, v15, v6, vcc_lo
	v_and_or_b32 v7, 0x8000, v7, v16
	s_waitcnt vmcnt(0)
	v_mul_f16_sdwa v4, v24, v23 dst_sel:DWORD dst_unused:UNUSED_PAD src0_sel:WORD_1 src1_sel:DWORD
	v_mov_b32_e32 v26, v24
	v_fmac_f16_e32 v4, v24, v0
	v_sub_nc_u32_e32 v24, 0x3f1, v18
	v_mul_f16_sdwa v0, v26, v0 dst_sel:DWORD dst_unused:UNUSED_PAD src0_sel:WORD_1 src1_sel:DWORD
	v_add_nc_u32_e32 v18, 0xfffffc10, v18
	v_cvt_f32_f16_e32 v4, v4
	v_med3_i32 v24, v24, 0, 13
	v_fma_f16 v0, v26, v23, -v0
	v_and_b32_e32 v23, 7, v17
	v_cvt_f64_f32_e32 v[3:4], v4
	v_lshrrev_b32_e32 v25, v24, v22
	v_cvt_f32_f16_e32 v0, v0
	v_cmp_lt_i32_e32 vcc_lo, 5, v23
	v_lshlrev_b32_e32 v14, v24, v25
	v_lshrrev_b32_e32 v24, 16, v5
	v_cmp_ne_u32_e64 s0, v14, v22
	v_cvt_f64_f32_e32 v[14:15], v0
	v_and_or_b32 v0, 0x8000, v24, v21
	buffer_load_dword v24, off, s[20:23], 0 offset:36 ; 4-byte Folded Reload
	v_and_b32_e32 v0, 0xffff, v0
	v_mul_f64 v[5:6], v[3:4], s[6:7]
	v_cndmask_b32_e64 v3, 0, 1, s0
	v_cmp_eq_u32_e64 s0, 3, v23
	v_lshrrev_b32_e32 v4, 2, v17
	v_lshl_or_b32 v17, v18, 12, v12
	v_lshl_or_b32 v0, v7, 16, v0
	v_or_b32_e32 v3, v25, v3
	s_or_b32 vcc_lo, s0, vcc_lo
	v_add_co_ci_u32_e32 v21, vcc_lo, 0, v4, vcc_lo
	v_cmp_ne_u32_e32 vcc_lo, 0, v20
	v_mul_f64 v[14:15], v[14:15], s[6:7]
	v_cndmask_b32_e64 v20, 0, 1, vcc_lo
	v_cmp_gt_i32_e32 vcc_lo, 1, v18
	v_lshl_or_b32 v20, v20, 9, 0x7c00
	v_cndmask_b32_e32 v16, v17, v3, vcc_lo
	v_cmp_gt_i32_e32 vcc_lo, 31, v10
	v_and_or_b32 v5, 0x1ff, v6, v5
	ds_read2_b32 v[3:4], v193 offset0:50 offset1:175
	v_bfe_u32 v22, v6, 20, 11
	v_and_b32_e32 v19, 7, v16
	v_cndmask_b32_e32 v17, 0x7c00, v21, vcc_lo
	v_cmp_ne_u32_e32 vcc_lo, 0, v5
	v_lshrrev_b32_e32 v10, 2, v16
	v_lshrrev_b32_e32 v21, 8, v6
	v_cmp_eq_u32_e64 s0, 3, v19
	v_sub_nc_u32_e32 v7, 0x3f1, v22
	v_cndmask_b32_e64 v5, 0, 1, vcc_lo
	v_cmp_lt_i32_e32 vcc_lo, 5, v19
	v_cndmask_b32_e64 v17, v17, v20, s1
	v_bfe_u32 v25, v15, 20, 11
	v_med3_i32 v7, v7, 0, 13
	v_and_or_b32 v5, 0xffe, v21, v5
	s_or_b32 vcc_lo, s0, vcc_lo
	v_lshrrev_b32_e32 v6, 16, v6
	v_add_co_ci_u32_e32 v10, vcc_lo, 0, v10, vcc_lo
	v_cmp_ne_u32_e32 vcc_lo, 0, v12
	s_waitcnt lgkmcnt(0)
	v_lshrrev_b32_e32 v19, 16, v3
	v_or_b32_e32 v16, 0x1000, v5
	v_cndmask_b32_e64 v12, 0, 1, vcc_lo
	v_cmp_gt_i32_e32 vcc_lo, 31, v18
	v_lshrrev_b32_e32 v21, v7, v16
	v_lshl_or_b32 v12, v12, 9, 0x7c00
	v_cndmask_b32_e32 v23, 0x7c00, v10, vcc_lo
	v_and_or_b32 v10, 0x1ff, v15, v14
	v_lshrrev_b32_e32 v14, 16, v11
	v_lshlrev_b32_e32 v7, v7, v21
	v_cmp_ne_u32_e32 vcc_lo, 0, v10
	v_and_or_b32 v14, 0x8000, v14, v17
	v_and_b32_e32 v14, 0xffff, v14
	s_waitcnt vmcnt(0)
	v_mul_f16_sdwa v20, v24, v19 dst_sel:DWORD dst_unused:UNUSED_PAD src0_sel:WORD_1 src1_sel:DWORD
	v_mov_b32_e32 v26, v24
	v_fmac_f16_e32 v20, v24, v3
	v_lshrrev_b32_e32 v24, 8, v15
	v_mul_f16_sdwa v3, v26, v3 dst_sel:DWORD dst_unused:UNUSED_PAD src0_sel:WORD_1 src1_sel:DWORD
	v_lshrrev_b32_e32 v15, 16, v15
	v_cvt_f32_f16_e32 v11, v20
	v_cndmask_b32_e64 v20, 0, 1, vcc_lo
	v_cmp_eq_u32_e32 vcc_lo, 0x40f, v18
	v_fma_f16 v3, v26, v19, -v3
	v_cvt_f64_f32_e32 v[10:11], v11
	v_and_or_b32 v18, 0xffe, v24, v20
	v_cndmask_b32_e32 v12, v23, v12, vcc_lo
	v_cmp_ne_u32_e32 vcc_lo, v7, v16
	v_add_nc_u32_e32 v16, 0xfffffc10, v22
	v_sub_nc_u32_e32 v20, 0x3f1, v25
	v_or_b32_e32 v17, 0x1000, v18
	v_and_or_b32 v22, 0x8000, v13, v12
	v_cndmask_b32_e64 v7, 0, 1, vcc_lo
	v_cmp_gt_i32_e32 vcc_lo, 1, v16
	v_med3_i32 v20, v20, 0, 13
	v_cvt_f32_f16_e32 v3, v3
	v_lshl_or_b32 v14, v22, 16, v14
	buffer_load_dword v22, off, s[20:23], 0 offset:32 ; 4-byte Folded Reload
	v_or_b32_e32 v7, v21, v7
	v_lshl_or_b32 v21, v16, 12, v5
	v_lshrrev_b32_e32 v23, v20, v17
	v_cndmask_b32_e32 v19, v21, v7, vcc_lo
	v_lshlrev_b32_e32 v12, v20, v23
	v_add_co_u32 v7, vcc_lo, v8, s3
	v_mul_f64 v[10:11], v[10:11], s[6:7]
	v_add_co_ci_u32_e32 v8, vcc_lo, s2, v9, vcc_lo
	v_and_b32_e32 v20, 7, v19
	v_cmp_ne_u32_e32 vcc_lo, v12, v17
	v_lshrrev_b32_e32 v17, 2, v19
	v_cvt_f64_f32_e32 v[12:13], v3
	v_add_nc_u32_e32 v3, 0xfffffc10, v25
	v_cmp_eq_u32_e64 s0, 3, v20
	v_cndmask_b32_e64 v9, 0, 1, vcc_lo
	v_cmp_lt_i32_e32 vcc_lo, 5, v20
	global_store_dword v[7:8], v0, off
	v_lshl_or_b32 v20, v3, 12, v18
	v_or_b32_e32 v19, v23, v9
	s_or_b32 vcc_lo, s0, vcc_lo
	v_add_co_ci_u32_e32 v17, vcc_lo, 0, v17, vcc_lo
	v_cmp_ne_u32_e32 vcc_lo, 0, v5
	v_and_or_b32 v21, 0x1ff, v11, v10
	v_cndmask_b32_e64 v5, 0, 1, vcc_lo
	v_add_co_u32 v9, vcc_lo, v7, s5
	v_add_co_ci_u32_e32 v10, vcc_lo, s4, v8, vcc_lo
	v_cmp_gt_i32_e32 vcc_lo, 1, v3
	v_mul_f64 v[7:8], v[12:13], s[6:7]
	v_lshl_or_b32 v5, v5, 9, 0x7c00
	v_lshrrev_b32_e32 v13, 8, v11
	global_store_dword v[9:10], v14, off
	v_cndmask_b32_e32 v19, v20, v19, vcc_lo
	v_cmp_gt_i32_e32 vcc_lo, 31, v16
	v_bfe_u32 v20, v11, 20, 11
	v_and_b32_e32 v0, 7, v19
	v_cndmask_b32_e32 v17, 0x7c00, v17, vcc_lo
	v_cmp_ne_u32_e32 vcc_lo, 0, v21
	v_lshrrev_b32_e32 v21, 16, v2
	v_cmp_eq_u32_e64 s0, 3, v0
	v_cndmask_b32_e64 v12, 0, 1, vcc_lo
	v_cmp_eq_u32_e32 vcc_lo, 0x40f, v16
	v_and_or_b32 v16, 0xffe, v13, v12
	v_cndmask_b32_e32 v5, v17, v5, vcc_lo
	v_cmp_lt_i32_e32 vcc_lo, 5, v0
	v_sub_nc_u32_e32 v12, 0x3f1, v20
	v_lshrrev_b32_e32 v0, 2, v19
	v_or_b32_e32 v17, 0x1000, v16
	v_and_or_b32 v7, 0x1ff, v8, v7
	s_or_b32 vcc_lo, s0, vcc_lo
	v_med3_i32 v12, v12, 0, 13
	v_add_co_ci_u32_e32 v0, vcc_lo, 0, v0, vcc_lo
	v_cmp_ne_u32_e32 vcc_lo, 0, v18
	v_lshrrev_b32_e32 v23, 8, v8
	v_lshrrev_b32_e32 v19, v12, v17
	v_bfe_u32 v24, v8, 20, 11
	v_add_nc_u32_e32 v20, 0xfffffc10, v20
	v_cndmask_b32_e64 v18, 0, 1, vcc_lo
	v_cmp_gt_i32_e32 vcc_lo, 31, v3
	v_lshrrev_b32_e32 v8, 16, v8
	v_lshl_or_b32 v18, v18, 9, 0x7c00
	v_cndmask_b32_e32 v0, 0x7c00, v0, vcc_lo
	v_cmp_ne_u32_e32 vcc_lo, 0, v7
	v_cndmask_b32_e64 v7, 0, 1, vcc_lo
	v_and_or_b32 v7, 0xffe, v23, v7
	v_or_b32_e32 v23, 0x1000, v7
	s_waitcnt vmcnt(0)
	v_mul_f16_sdwa v13, v22, v21 dst_sel:DWORD dst_unused:UNUSED_PAD src0_sel:WORD_1 src1_sel:DWORD
	v_mov_b32_e32 v25, v22
	v_fmac_f16_e32 v13, v22, v2
	v_lshlrev_b32_e32 v22, v12, v19
	v_mul_f16_sdwa v2, v25, v2 dst_sel:DWORD dst_unused:UNUSED_PAD src0_sel:WORD_1 src1_sel:DWORD
	v_cvt_f32_f16_e32 v13, v13
	v_cmp_ne_u32_e32 vcc_lo, v22, v17
	v_sub_nc_u32_e32 v22, 0x3f1, v24
	v_fma_f16 v21, v25, v21, -v2
	v_cvt_f64_f32_e32 v[12:13], v13
	v_cndmask_b32_e64 v17, 0, 1, vcc_lo
	v_cmp_eq_u32_e32 vcc_lo, 0x40f, v3
	v_med3_i32 v22, v22, 0, 13
	v_or_b32_e32 v17, v19, v17
	v_lshl_or_b32 v19, v20, 12, v16
	v_cndmask_b32_e32 v0, v0, v18, vcc_lo
	v_cmp_gt_i32_e32 vcc_lo, 1, v20
	v_and_or_b32 v18, 0x8000, v6, v5
	v_and_or_b32 v0, 0x8000, v15, v0
	v_add_nc_u32_e32 v15, 0xfffffc10, v24
	v_and_b32_e32 v14, 0xffff, v18
	v_mul_f64 v[2:3], v[12:13], s[6:7]
	v_cndmask_b32_e32 v13, v19, v17, vcc_lo
	v_lshrrev_b32_e32 v17, v22, v23
	v_cvt_f32_f16_e32 v12, v21
	v_lshrrev_b32_e32 v21, 16, v1
	v_lshlrev_b32_e32 v19, v22, v17
	buffer_load_dword v22, off, s[20:23], 0 offset:28 ; 4-byte Folded Reload
	v_cvt_f64_f32_e32 v[5:6], v12
	v_and_b32_e32 v12, 7, v13
	v_cmp_ne_u32_e64 s1, v19, v23
	v_cmp_lt_i32_e32 vcc_lo, 5, v12
	v_cmp_eq_u32_e64 s0, 3, v12
	v_lshrrev_b32_e32 v12, 2, v13
	v_cndmask_b32_e64 v13, 0, 1, s1
	s_or_b32 vcc_lo, s0, vcc_lo
	v_and_or_b32 v2, 0x1ff, v3, v2
	v_add_co_ci_u32_e32 v12, vcc_lo, 0, v12, vcc_lo
	v_cmp_ne_u32_e32 vcc_lo, 0, v16
	v_or_b32_e32 v13, v17, v13
	v_lshl_or_b32 v17, v15, 12, v7
	v_bfe_u32 v18, v3, 20, 11
	v_cndmask_b32_e64 v16, 0, 1, vcc_lo
	v_cmp_gt_i32_e32 vcc_lo, 31, v20
	v_mul_f64 v[5:6], v[5:6], s[6:7]
	v_lshl_or_b32 v16, v16, 9, 0x7c00
	v_cndmask_b32_e32 v12, 0x7c00, v12, vcc_lo
	v_cmp_gt_i32_e32 vcc_lo, 1, v15
	v_cndmask_b32_e32 v13, v17, v13, vcc_lo
	v_cmp_ne_u32_e32 vcc_lo, 0, v2
	v_lshrrev_b32_e32 v17, 8, v3
	v_and_b32_e32 v19, 7, v13
	v_cndmask_b32_e64 v2, 0, 1, vcc_lo
	v_cmp_eq_u32_e32 vcc_lo, 0x40f, v20
	v_cmp_eq_u32_e64 s0, 3, v19
	v_and_or_b32 v2, 0xffe, v17, v2
	v_cndmask_b32_e32 v16, v12, v16, vcc_lo
	v_cmp_lt_i32_e32 vcc_lo, 5, v19
	v_lshrrev_b32_e32 v19, 16, v11
	v_lshrrev_b32_e32 v11, 2, v13
	v_sub_nc_u32_e32 v17, 0x3f1, v18
	v_or_b32_e32 v20, 0x1000, v2
	s_or_b32 vcc_lo, s0, vcc_lo
	v_and_or_b32 v5, 0x1ff, v6, v5
	v_and_or_b32 v16, 0x8000, v19, v16
	v_med3_i32 v17, v17, 0, 13
	v_bfe_u32 v23, v6, 20, 11
	v_add_nc_u32_e32 v18, 0xfffffc10, v18
	v_and_b32_e32 v16, 0xffff, v16
	v_lshrrev_b32_e32 v13, v17, v20
	v_cmp_eq_u32_e64 s1, 0x40f, v18
	v_lshlrev_b32_e32 v17, v17, v13
	s_waitcnt vmcnt(0)
	v_mul_f16_sdwa v12, v22, v21 dst_sel:DWORD dst_unused:UNUSED_PAD src0_sel:WORD_1 src1_sel:DWORD
	v_mov_b32_e32 v24, v22
	v_fmac_f16_e32 v12, v22, v1
	v_add_co_ci_u32_e32 v22, vcc_lo, 0, v11, vcc_lo
	v_cmp_gt_i32_e32 vcc_lo, 31, v15
	v_mul_f16_sdwa v1, v24, v1 dst_sel:DWORD dst_unused:UNUSED_PAD src0_sel:WORD_1 src1_sel:DWORD
	v_cvt_f32_f16_e32 v12, v12
	v_cndmask_b32_e32 v19, 0x7c00, v22, vcc_lo
	v_cmp_ne_u32_e32 vcc_lo, 0, v5
	v_cvt_f64_f32_e32 v[11:12], v12
	v_lshrrev_b32_e32 v22, 8, v6
	v_fma_f16 v1, v24, v21, -v1
	v_cndmask_b32_e64 v5, 0, 1, vcc_lo
	v_cmp_ne_u32_e32 vcc_lo, 0, v7
	v_and_or_b32 v5, 0xffe, v22, v5
	v_cndmask_b32_e64 v7, 0, 1, vcc_lo
	v_cmp_ne_u32_e32 vcc_lo, v17, v20
	v_sub_nc_u32_e32 v20, 0x3f1, v23
	v_or_b32_e32 v22, 0x1000, v5
	v_lshl_or_b32 v7, v7, 9, 0x7c00
	v_cndmask_b32_e64 v17, 0, 1, vcc_lo
	v_med3_i32 v20, v20, 0, 13
	v_cmp_eq_u32_e32 vcc_lo, 0x40f, v15
	v_or_b32_e32 v13, v13, v17
	v_mul_f64 v[11:12], v[11:12], s[6:7]
	v_lshl_or_b32 v17, v18, 12, v2
	v_cndmask_b32_e32 v7, v19, v7, vcc_lo
	v_cmp_gt_i32_e32 vcc_lo, 1, v18
	v_lshrrev_b32_e32 v15, v20, v22
	v_cndmask_b32_e32 v13, v17, v13, vcc_lo
	v_lshlrev_b32_e32 v19, v20, v15
	v_lshl_or_b32 v17, v0, 16, v14
	v_cvt_f32_f16_e32 v0, v1
	v_and_or_b32 v14, 0x8000, v8, v7
	v_and_b32_e32 v20, 7, v13
	v_cmp_ne_u32_e64 s0, v19, v22
	v_add_co_u32 v7, vcc_lo, v9, s3
	v_add_co_ci_u32_e32 v8, vcc_lo, s2, v10, vcc_lo
	v_cmp_lt_i32_e32 vcc_lo, 5, v20
	v_cndmask_b32_e64 v9, 0, 1, s0
	v_cmp_eq_u32_e64 s0, 3, v20
	v_cvt_f64_f32_e32 v[0:1], v0
	v_and_or_b32 v10, 0x1ff, v12, v11
	v_lshrrev_b32_e32 v11, 2, v13
	v_add_nc_u32_e32 v19, 0xfffffc10, v23
	s_or_b32 vcc_lo, s0, vcc_lo
	v_or_b32_e32 v9, v15, v9
	v_lshrrev_b32_e32 v20, 8, v12
	v_add_co_ci_u32_e32 v11, vcc_lo, 0, v11, vcc_lo
	v_cmp_ne_u32_e32 vcc_lo, 0, v10
	v_lshl_or_b32 v13, v19, 12, v5
	v_bfe_u32 v21, v12, 20, 11
	v_lshl_or_b32 v16, v14, 16, v16
	global_store_dword v[7:8], v17, off
	v_cndmask_b32_e64 v15, 0, 1, vcc_lo
	v_cmp_gt_i32_e32 vcc_lo, 1, v19
	v_lshrrev_b32_e32 v12, 16, v12
	v_and_or_b32 v15, 0xffe, v20, v15
	v_cndmask_b32_e32 v13, v13, v9, vcc_lo
	v_cmp_ne_u32_e32 vcc_lo, 0, v2
	v_mul_f64 v[9:10], v[0:1], s[6:7]
	v_sub_nc_u32_e32 v0, 0x3f1, v21
	v_or_b32_e32 v20, 0x1000, v15
	v_and_b32_e32 v2, 7, v13
	v_cndmask_b32_e64 v1, 0, 1, vcc_lo
	v_cmp_gt_i32_e32 vcc_lo, 31, v18
	v_med3_i32 v0, v0, 0, 13
	v_lshrrev_b32_e32 v18, 16, v3
	v_cmp_eq_u32_e64 s0, 3, v2
	v_lshl_or_b32 v1, v1, 9, 0x7c00
	v_cndmask_b32_e32 v11, 0x7c00, v11, vcc_lo
	v_lshrrev_b32_e32 v14, v0, v20
	v_cmp_lt_i32_e32 vcc_lo, 5, v2
	v_lshrrev_b32_e32 v2, 16, v4
	v_cndmask_b32_e64 v11, v11, v1, s1
	v_lshrrev_b32_e32 v1, 2, v13
	buffer_load_dword v13, off, s[20:23], 0 offset:24 ; 4-byte Folded Reload
	v_lshlrev_b32_e32 v0, v0, v14
	s_or_b32 vcc_lo, s0, vcc_lo
	v_and_or_b32 v11, 0x8000, v18, v11
	v_and_or_b32 v9, 0x1ff, v10, v9
	v_cmp_ne_u32_e64 s1, v0, v20
	v_add_nc_u32_e32 v20, 0xfffffc10, v21
	v_bfe_u32 v22, v10, 20, 11
	v_and_b32_e32 v11, 0xffff, v11
	v_cndmask_b32_e64 v0, 0, 1, s1
	v_lshl_or_b32 v21, v20, 12, v15
	v_or_b32_e32 v14, v14, v0
	s_waitcnt vmcnt(0)
	v_mul_f16_sdwa v3, v13, v2 dst_sel:DWORD dst_unused:UNUSED_PAD src0_sel:WORD_1 src1_sel:DWORD
	v_mov_b32_e32 v27, v13
	v_fmac_f16_e32 v3, v13, v4
	v_add_co_ci_u32_e32 v13, vcc_lo, 0, v1, vcc_lo
	v_cmp_ne_u32_e32 vcc_lo, 0, v9
	v_lshrrev_b32_e32 v9, 8, v10
	v_cvt_f32_f16_e32 v0, v3
	v_mul_f16_sdwa v24, v27, v4 dst_sel:DWORD dst_unused:UNUSED_PAD src0_sel:WORD_1 src1_sel:DWORD
	v_lshrrev_b32_e32 v10, 16, v10
	v_cndmask_b32_e64 v3, 0, 1, vcc_lo
	v_cmp_ne_u32_e32 vcc_lo, 0, v5
	v_cvt_f64_f32_e32 v[0:1], v0
	v_fma_f16 v2, v27, v2, -v24
	v_lshrrev_b32_e32 v24, 16, v6
	v_and_or_b32 v9, 0xffe, v9, v3
	v_cndmask_b32_e64 v5, 0, 1, vcc_lo
	v_cmp_gt_i32_e32 vcc_lo, 31, v19
	v_sub_nc_u32_e32 v3, 0x3f1, v22
	v_cvt_f32_f16_e32 v2, v2
	v_lshl_or_b32 v5, v5, 9, 0x7c00
	v_cndmask_b32_e32 v13, 0x7c00, v13, vcc_lo
	v_cmp_gt_i32_e32 vcc_lo, 1, v20
	v_med3_i32 v23, v3, 0, 13
	v_cndmask_b32_e32 v14, v21, v14, vcc_lo
	v_add_co_u32 v3, vcc_lo, v7, s3
	v_or_b32_e32 v21, 0x1000, v9
	v_add_co_ci_u32_e32 v4, vcc_lo, s2, v8, vcc_lo
	v_and_b32_e32 v26, 7, v14
	v_cmp_eq_u32_e32 vcc_lo, 0x40f, v19
	v_lshrrev_b32_e32 v25, v23, v21
	global_store_dword v[3:4], v16, off
	v_cmp_eq_u32_e64 s0, 3, v26
	v_cndmask_b32_e32 v19, v13, v5, vcc_lo
	v_cmp_lt_i32_e32 vcc_lo, 5, v26
	v_mul_f64 v[5:6], v[0:1], s[6:7]
	v_lshrrev_b32_e32 v0, 2, v14
	v_lshlrev_b32_e32 v23, v23, v25
	v_cvt_f64_f32_e32 v[13:14], v2
	s_or_b32 vcc_lo, s0, vcc_lo
	v_and_or_b32 v18, 0x8000, v24, v19
	v_add_co_ci_u32_e32 v0, vcc_lo, 0, v0, vcc_lo
	v_cmp_ne_u32_e64 s1, v23, v21
	v_cmp_ne_u32_e32 vcc_lo, 0, v15
	v_add_nc_u32_e32 v21, 0xfffffc10, v22
	v_lshl_or_b32 v18, v18, 16, v11
	v_cndmask_b32_e64 v1, 0, 1, s1
	v_cndmask_b32_e64 v15, 0, 1, vcc_lo
	v_cmp_gt_i32_e32 vcc_lo, 31, v20
	v_lshl_or_b32 v2, v21, 12, v9
	v_or_b32_e32 v1, v25, v1
	v_lshl_or_b32 v15, v15, 9, 0x7c00
	v_cndmask_b32_e32 v0, 0x7c00, v0, vcc_lo
	v_cmp_gt_i32_e32 vcc_lo, 1, v21
	v_and_or_b32 v5, 0x1ff, v6, v5
	v_lshrrev_b32_e32 v7, 8, v6
	v_mul_f64 v[13:14], v[13:14], s[6:7]
	v_cndmask_b32_e32 v19, v2, v1, vcc_lo
	v_cmp_eq_u32_e32 vcc_lo, 0x40f, v20
	buffer_load_dword v20, off, s[20:23], 0 offset:20 ; 4-byte Folded Reload
	ds_read2_b32 v[1:2], v125 offset0:104 offset1:229
	v_cmp_ne_u32_e64 s0, 0, v5
	v_and_b32_e32 v22, 7, v19
	v_lshrrev_b32_e32 v8, 2, v19
	v_cndmask_b32_e32 v0, v0, v15, vcc_lo
	v_bfe_u32 v15, v6, 20, 11
	v_cndmask_b32_e64 v5, 0, 1, s0
	v_cmp_lt_i32_e32 vcc_lo, 5, v22
	v_cmp_eq_u32_e64 s0, 3, v22
	v_and_or_b32 v0, 0x8000, v12, v0
	v_and_or_b32 v5, 0xffe, v7, v5
	v_sub_nc_u32_e32 v7, 0x3f1, v15
	s_or_b32 vcc_lo, s0, vcc_lo
	v_add_nc_u32_e32 v15, 0xfffffc10, v15
	v_add_co_ci_u32_e32 v8, vcc_lo, 0, v8, vcc_lo
	v_cmp_ne_u32_e32 vcc_lo, 0, v9
	v_or_b32_e32 v17, 0x1000, v5
	v_med3_i32 v7, v7, 0, 13
	s_waitcnt lgkmcnt(0)
	v_lshrrev_b32_e32 v16, 16, v1
	v_and_or_b32 v13, 0x1ff, v14, v13
	v_cndmask_b32_e64 v9, 0, 1, vcc_lo
	v_cmp_gt_i32_e32 vcc_lo, 31, v21
	v_bfe_u32 v23, v14, 20, 11
	v_and_b32_e32 v0, 0xffff, v0
	v_lshl_or_b32 v9, v9, 9, 0x7c00
	v_cndmask_b32_e32 v22, 0x7c00, v8, vcc_lo
	v_cmp_ne_u32_e32 vcc_lo, 0, v13
	v_sub_nc_u32_e32 v12, 0x3f1, v23
	v_cndmask_b32_e64 v13, 0, 1, vcc_lo
	v_med3_i32 v12, v12, 0, 13
	s_waitcnt vmcnt(0)
	v_mul_f16_sdwa v19, v20, v16 dst_sel:DWORD dst_unused:UNUSED_PAD src0_sel:WORD_1 src1_sel:DWORD
	v_mov_b32_e32 v25, v20
	v_fmac_f16_e32 v19, v20, v1
	v_mul_f16_sdwa v1, v25, v1 dst_sel:DWORD dst_unused:UNUSED_PAD src0_sel:WORD_1 src1_sel:DWORD
	v_lshrrev_b32_e32 v20, v7, v17
	v_cvt_f32_f16_e32 v8, v19
	v_fma_f16 v1, v25, v16, -v1
	buffer_load_dword v25, off, s[20:23], 0 offset:16 ; 4-byte Folded Reload
	v_lshrrev_b32_e32 v19, 8, v14
	v_lshlrev_b32_e32 v24, v7, v20
	v_cvt_f64_f32_e32 v[7:8], v8
	v_cvt_f32_f16_e32 v1, v1
	v_add_nc_u32_e32 v16, 0xfffffc10, v23
	v_and_or_b32 v13, 0xffe, v19, v13
	v_cmp_ne_u32_e32 vcc_lo, v24, v17
	v_lshrrev_b32_e32 v14, 16, v14
	v_or_b32_e32 v19, 0x1000, v13
	v_cndmask_b32_e64 v17, 0, 1, vcc_lo
	v_cmp_eq_u32_e32 vcc_lo, 0x40f, v21
	v_lshrrev_b32_e32 v21, v12, v19
	v_or_b32_e32 v17, v20, v17
	v_cndmask_b32_e32 v9, v22, v9, vcc_lo
	v_lshl_or_b32 v20, v15, 12, v5
	v_cmp_gt_i32_e32 vcc_lo, 1, v15
	v_and_or_b32 v11, 0x8000, v10, v9
	v_lshlrev_b32_e32 v9, v12, v21
	v_cndmask_b32_e32 v17, v20, v17, vcc_lo
	v_mul_f64 v[7:8], v[7:8], s[6:7]
	v_add_co_u32 v3, vcc_lo, v3, s5
	v_cmp_ne_u32_e64 s0, v9, v19
	v_and_b32_e32 v10, 7, v17
	v_add_co_ci_u32_e32 v4, vcc_lo, s4, v4, vcc_lo
	v_lshl_or_b32 v19, v11, 16, v0
	v_cndmask_b32_e64 v12, 0, 1, s0
	v_cmp_lt_i32_e32 vcc_lo, 5, v10
	v_cmp_eq_u32_e64 s0, 3, v10
	v_lshrrev_b32_e32 v0, 2, v17
	v_cvt_f64_f32_e32 v[9:10], v1
	v_or_b32_e32 v11, v21, v12
	v_lshl_or_b32 v12, v16, 12, v13
	s_or_b32 vcc_lo, s0, vcc_lo
	global_store_dword v[3:4], v18, off
	v_add_co_ci_u32_e32 v17, vcc_lo, 0, v0, vcc_lo
	v_cmp_ne_u32_e32 vcc_lo, 0, v5
	ds_read2_b32 v[0:1], v123 offset0:74 offset1:199
	v_and_or_b32 v7, 0x1ff, v8, v7
	v_bfe_u32 v23, v8, 20, 11
	v_cndmask_b32_e64 v5, 0, 1, vcc_lo
	v_cmp_gt_i32_e32 vcc_lo, 1, v16
	v_lshrrev_b32_e32 v22, 8, v8
	v_lshrrev_b32_e32 v8, 16, v8
	v_lshl_or_b32 v5, v5, 9, 0x7c00
	v_cndmask_b32_e32 v20, v12, v11, vcc_lo
	v_cmp_gt_i32_e32 vcc_lo, 31, v15
	v_mul_f64 v[9:10], v[9:10], s[6:7]
	v_and_b32_e32 v21, 7, v20
	v_cndmask_b32_e32 v17, 0x7c00, v17, vcc_lo
	v_cmp_ne_u32_e32 vcc_lo, 0, v7
	v_lshrrev_b32_e32 v20, 2, v20
	v_cmp_eq_u32_e64 s0, 3, v21
	v_cndmask_b32_e64 v7, 0, 1, vcc_lo
	v_add_co_u32 v11, vcc_lo, v3, s3
	v_add_co_ci_u32_e32 v12, vcc_lo, s2, v4, vcc_lo
	v_cmp_eq_u32_e32 vcc_lo, 0x40f, v15
	v_and_or_b32 v7, 0xffe, v22, v7
	global_store_dword v[11:12], v19, off
	v_cndmask_b32_e32 v15, v17, v5, vcc_lo
	v_cmp_lt_i32_e32 vcc_lo, 5, v21
	v_sub_nc_u32_e32 v5, 0x3f1, v23
	s_waitcnt lgkmcnt(0)
	v_lshrrev_b32_e32 v17, 16, v0
	v_or_b32_e32 v21, 0x1000, v7
	v_and_or_b32 v9, 0x1ff, v10, v9
	s_or_b32 vcc_lo, s0, vcc_lo
	v_med3_i32 v24, v5, 0, 13
	v_add_co_ci_u32_e32 v5, vcc_lo, 0, v20, vcc_lo
	v_cmp_ne_u32_e32 vcc_lo, 0, v13
	v_lshrrev_b32_e32 v20, 16, v6
	v_lshrrev_b32_e32 v13, v24, v21
	v_cndmask_b32_e64 v6, 0, 1, vcc_lo
	v_cmp_gt_i32_e32 vcc_lo, 31, v16
	v_and_or_b32 v15, 0x8000, v20, v15
	v_lshrrev_b32_e32 v20, 8, v10
	v_lshl_or_b32 v26, v6, 9, 0x7c00
	v_and_b32_e32 v15, 0xffff, v15
	s_waitcnt vmcnt(0)
	v_mul_f16_sdwa v22, v25, v17 dst_sel:DWORD dst_unused:UNUSED_PAD src0_sel:WORD_1 src1_sel:DWORD
	v_mov_b32_e32 v27, v25
	v_fmac_f16_e32 v22, v25, v0
	v_cndmask_b32_e32 v25, 0x7c00, v5, vcc_lo
	v_cmp_eq_u32_e32 vcc_lo, 0x40f, v16
	v_mul_f16_sdwa v0, v27, v0 dst_sel:DWORD dst_unused:UNUSED_PAD src0_sel:WORD_1 src1_sel:DWORD
	v_cvt_f32_f16_e32 v22, v22
	v_cndmask_b32_e32 v16, v25, v26, vcc_lo
	v_cmp_ne_u32_e32 vcc_lo, 0, v9
	v_fma_f16 v0, v27, v17, -v0
	v_cvt_f64_f32_e32 v[5:6], v22
	v_lshlrev_b32_e32 v22, v24, v13
	v_bfe_u32 v24, v10, 20, 11
	v_cndmask_b32_e64 v9, 0, 1, vcc_lo
	v_and_or_b32 v14, 0x8000, v14, v16
	v_cvt_f32_f16_e32 v0, v0
	v_cmp_ne_u32_e32 vcc_lo, v22, v21
	v_add_nc_u32_e32 v18, 0xfffffc10, v24
	v_and_or_b32 v9, 0xffe, v20, v9
	v_sub_nc_u32_e32 v20, 0x3f1, v24
	buffer_load_dword v24, off, s[20:23], 0 offset:12 ; 4-byte Folded Reload
	v_cndmask_b32_e64 v21, 0, 1, vcc_lo
	v_add_nc_u32_e32 v22, 0xfffffc10, v23
	v_or_b32_e32 v23, 0x1000, v9
	v_med3_i32 v20, v20, 0, 13
	v_lshl_or_b32 v17, v14, 16, v15
	v_or_b32_e32 v13, v13, v21
	v_lshl_or_b32 v21, v22, 12, v7
	v_cmp_gt_i32_e32 vcc_lo, 1, v22
	v_lshrrev_b32_e32 v3, v20, v23
	v_lshl_or_b32 v16, v18, 12, v9
	v_lshrrev_b32_e32 v10, 16, v10
	v_mul_f64 v[5:6], v[5:6], s[6:7]
	v_cndmask_b32_e32 v13, v21, v13, vcc_lo
	v_lshlrev_b32_e32 v14, v20, v3
	v_and_b32_e32 v4, 7, v13
	v_cmp_ne_u32_e64 s1, v14, v23
	v_cmp_lt_i32_e32 vcc_lo, 5, v4
	v_cmp_eq_u32_e64 s0, 3, v4
	v_lshrrev_b32_e32 v4, 2, v13
	v_cvt_f64_f32_e32 v[13:14], v0
	v_cndmask_b32_e64 v15, 0, 1, s1
	v_cmp_eq_u32_e64 s1, 0x40f, v22
	s_or_b32 vcc_lo, s0, vcc_lo
	v_add_co_ci_u32_e32 v0, vcc_lo, 0, v4, vcc_lo
	v_cmp_ne_u32_e32 vcc_lo, 0, v7
	v_or_b32_e32 v15, v3, v15
	ds_read2_b32 v[3:4], v120 offset0:44 offset1:169
	v_and_or_b32 v5, 0x1ff, v6, v5
	v_bfe_u32 v19, v6, 20, 11
	v_cndmask_b32_e64 v7, 0, 1, vcc_lo
	v_add_co_u32 v11, vcc_lo, v11, s3
	v_add_co_ci_u32_e32 v12, vcc_lo, s2, v12, vcc_lo
	v_cmp_gt_i32_e32 vcc_lo, 1, v18
	v_lshl_or_b32 v7, v7, 9, 0x7c00
	global_store_dword v[11:12], v17, off
	v_cndmask_b32_e32 v15, v16, v15, vcc_lo
	v_cmp_gt_i32_e32 vcc_lo, 31, v22
	v_lshrrev_b32_e32 v16, 8, v6
	v_mul_f64 v[13:14], v[13:14], s[6:7]
	v_and_b32_e32 v20, 7, v15
	v_cndmask_b32_e32 v0, 0x7c00, v0, vcc_lo
	v_cmp_ne_u32_e32 vcc_lo, 0, v5
	s_waitcnt lgkmcnt(0)
	v_lshrrev_b32_e32 v21, 16, v3
	v_cmp_eq_u32_e64 s0, 3, v20
	v_cndmask_b32_e64 v0, v0, v7, s1
	v_cndmask_b32_e64 v5, 0, 1, vcc_lo
	v_cmp_lt_i32_e32 vcc_lo, 5, v20
	v_lshrrev_b32_e32 v7, 2, v15
	v_and_or_b32 v0, 0x8000, v8, v0
	v_and_or_b32 v5, 0xffe, v16, v5
	v_sub_nc_u32_e32 v16, 0x3f1, v19
	s_or_b32 vcc_lo, s0, vcc_lo
	v_add_nc_u32_e32 v19, 0xfffffc10, v19
	v_add_co_ci_u32_e32 v7, vcc_lo, 0, v7, vcc_lo
	v_or_b32_e32 v20, 0x1000, v5
	v_med3_i32 v16, v16, 0, 13
	v_cmp_ne_u32_e32 vcc_lo, 0, v9
	v_and_or_b32 v13, 0x1ff, v14, v13
	v_and_b32_e32 v0, 0xffff, v0
	v_lshrrev_b32_e32 v22, v16, v20
	v_cndmask_b32_e64 v9, 0, 1, vcc_lo
	v_cmp_gt_i32_e32 vcc_lo, 31, v18
	v_lshl_or_b32 v9, v9, 9, 0x7c00
	v_cndmask_b32_e32 v7, 0x7c00, v7, vcc_lo
	s_waitcnt vmcnt(0)
	v_mul_f16_sdwa v23, v24, v21 dst_sel:DWORD dst_unused:UNUSED_PAD src0_sel:WORD_1 src1_sel:DWORD
	v_mov_b32_e32 v25, v24
	v_fmac_f16_e32 v23, v24, v3
	v_bfe_u32 v24, v14, 20, 11
	v_mul_f16_sdwa v3, v25, v3 dst_sel:DWORD dst_unused:UNUSED_PAD src0_sel:WORD_1 src1_sel:DWORD
	v_cvt_f32_f16_e32 v15, v23
	v_lshlrev_b32_e32 v23, v16, v22
	v_fma_f16 v3, v25, v21, -v3
	v_lshrrev_b32_e32 v21, 16, v2
	v_cvt_f64_f32_e32 v[15:16], v15
	v_cmp_ne_u32_e32 vcc_lo, v23, v20
	v_lshrrev_b32_e32 v23, 8, v14
	v_cvt_f32_f16_e32 v3, v3
	v_lshrrev_b32_e32 v14, 16, v14
	v_cndmask_b32_e64 v20, 0, 1, vcc_lo
	v_cmp_ne_u32_e32 vcc_lo, 0, v13
	v_or_b32_e32 v20, v22, v20
	v_cndmask_b32_e64 v13, 0, 1, vcc_lo
	v_cmp_eq_u32_e32 vcc_lo, 0x40f, v18
	v_lshl_or_b32 v22, v19, 12, v5
	v_and_or_b32 v13, 0xffe, v23, v13
	v_cndmask_b32_e32 v9, v7, v9, vcc_lo
	v_cmp_gt_i32_e32 vcc_lo, 1, v19
	v_sub_nc_u32_e32 v23, 0x3f1, v24
	v_mul_f64 v[7:8], v[15:16], s[6:7]
	v_and_or_b32 v9, 0x8000, v10, v9
	v_cndmask_b32_e32 v18, v22, v20, vcc_lo
	v_or_b32_e32 v20, 0x1000, v13
	v_med3_i32 v22, v23, 0, 13
	v_lshl_or_b32 v0, v9, 16, v0
	v_and_b32_e32 v10, 7, v18
	v_lshrrev_b32_e32 v17, 2, v18
	v_add_nc_u32_e32 v18, 0xfffffc10, v24
	buffer_load_dword v24, off, s[20:23], 0 offset:8 ; 4-byte Folded Reload
	v_lshrrev_b32_e32 v15, v22, v20
	v_cmp_lt_i32_e32 vcc_lo, 5, v10
	v_cmp_eq_u32_e64 s0, 3, v10
	v_cvt_f64_f32_e32 v[9:10], v3
	v_lshlrev_b32_e32 v16, v22, v15
	s_or_b32 vcc_lo, s0, vcc_lo
	v_add_co_ci_u32_e32 v3, vcc_lo, 0, v17, vcc_lo
	v_cmp_ne_u32_e64 s1, v16, v20
	v_cmp_ne_u32_e32 vcc_lo, 0, v5
	v_and_or_b32 v7, 0x1ff, v8, v7
	v_bfe_u32 v17, v8, 20, 11
	v_cndmask_b32_e64 v16, 0, 1, s1
	v_cndmask_b32_e64 v5, 0, 1, vcc_lo
	v_cmp_gt_i32_e32 vcc_lo, 1, v18
	v_or_b32_e32 v15, v15, v16
	v_lshl_or_b32 v16, v18, 12, v13
	v_lshl_or_b32 v5, v5, 9, 0x7c00
	v_mul_f64 v[9:10], v[9:10], s[6:7]
	v_cndmask_b32_e32 v15, v16, v15, vcc_lo
	v_cmp_ne_u32_e32 vcc_lo, 0, v7
	v_lshrrev_b32_e32 v16, 8, v8
	v_and_b32_e32 v20, 7, v15
	v_cndmask_b32_e64 v7, 0, 1, vcc_lo
	v_cmp_gt_i32_e32 vcc_lo, 31, v19
	v_lshrrev_b32_e32 v15, 2, v15
	v_cmp_eq_u32_e64 s0, 3, v20
	v_and_or_b32 v7, 0xffe, v16, v7
	v_cndmask_b32_e32 v3, 0x7c00, v3, vcc_lo
	v_cmp_lt_i32_e32 vcc_lo, 5, v20
	v_sub_nc_u32_e32 v16, 0x3f1, v17
	v_add_nc_u32_e32 v17, 0xfffffc10, v17
	v_or_b32_e32 v23, 0x1000, v7
	s_or_b32 vcc_lo, s0, vcc_lo
	v_med3_i32 v16, v16, 0, 13
	v_and_or_b32 v9, 0x1ff, v10, v9
	v_lshrrev_b32_e32 v20, v16, v23
	v_lshlrev_b32_e32 v25, v16, v20
	s_waitcnt vmcnt(0)
	v_mul_f16_sdwa v22, v24, v21 dst_sel:DWORD dst_unused:UNUSED_PAD src0_sel:WORD_1 src1_sel:DWORD
	v_mov_b32_e32 v26, v24
	v_fmac_f16_e32 v22, v24, v2
	v_add_co_ci_u32_e32 v24, vcc_lo, 0, v15, vcc_lo
	v_add_co_u32 v11, vcc_lo, v11, s5
	v_add_co_ci_u32_e32 v12, vcc_lo, s4, v12, vcc_lo
	v_cmp_ne_u32_e32 vcc_lo, 0, v13
	v_cvt_f32_f16_e32 v22, v22
	v_mul_f16_sdwa v2, v26, v2 dst_sel:DWORD dst_unused:UNUSED_PAD src0_sel:WORD_1 src1_sel:DWORD
	global_store_dword v[11:12], v0, off
	v_cndmask_b32_e64 v13, 0, 1, vcc_lo
	v_cmp_eq_u32_e32 vcc_lo, 0x40f, v19
	v_cvt_f64_f32_e32 v[15:16], v22
	v_lshrrev_b32_e32 v22, 16, v6
	v_fma_f16 v2, v26, v21, -v2
	v_lshl_or_b32 v13, v13, 9, 0x7c00
	v_cndmask_b32_e32 v3, v3, v5, vcc_lo
	v_cmp_gt_i32_e32 vcc_lo, 31, v18
	v_lshrrev_b32_e32 v21, 16, v1
	v_and_or_b32 v3, 0x8000, v22, v3
	v_cndmask_b32_e32 v5, 0x7c00, v24, vcc_lo
	buffer_load_dword v24, off, s[20:23], 0 offset:4 ; 4-byte Folded Reload
	v_cmp_ne_u32_e32 vcc_lo, v25, v23
	v_and_b32_e32 v3, 0xffff, v3
	v_cndmask_b32_e64 v19, 0, 1, vcc_lo
	v_cmp_eq_u32_e32 vcc_lo, 0x40f, v18
	v_or_b32_e32 v18, v20, v19
	v_cndmask_b32_e32 v13, v5, v13, vcc_lo
	v_cmp_ne_u32_e32 vcc_lo, 0, v9
	v_mul_f64 v[5:6], v[15:16], s[6:7]
	v_lshrrev_b32_e32 v19, 8, v10
	v_bfe_u32 v20, v10, 20, 11
	v_and_or_b32 v13, 0x8000, v14, v13
	v_cndmask_b32_e64 v9, 0, 1, vcc_lo
	v_lshl_or_b32 v15, v17, 12, v7
	v_cmp_gt_i32_e32 vcc_lo, 1, v17
	v_sub_nc_u32_e32 v16, 0x3f1, v20
	v_lshl_or_b32 v0, v13, 16, v3
	v_and_or_b32 v9, 0xffe, v19, v9
	v_add_nc_u32_e32 v20, 0xfffffc10, v20
	v_cndmask_b32_e32 v15, v15, v18, vcc_lo
	v_med3_i32 v16, v16, 0, 13
	v_lshrrev_b32_e32 v10, 16, v10
	v_or_b32_e32 v14, 0x1000, v9
	v_and_b32_e32 v18, 7, v15
	v_lshrrev_b32_e32 v15, 2, v15
	v_lshrrev_b32_e32 v19, v16, v14
	v_cmp_lt_i32_e32 vcc_lo, 5, v18
	v_and_or_b32 v5, 0x1ff, v6, v5
	v_cmp_eq_u32_e64 s0, 3, v18
	v_lshlrev_b32_e32 v13, v16, v19
	v_cvt_f32_f16_e32 v16, v2
	v_add_co_u32 v2, s1, v11, s3
	v_add_co_ci_u32_e64 v3, s1, s2, v12, s1
	v_cmp_ne_u32_e64 s1, 0, v5
	v_cvt_f64_f32_e32 v[11:12], v16
	v_lshrrev_b32_e32 v16, 8, v6
	v_bfe_u32 v18, v6, 20, 11
	s_or_b32 vcc_lo, s0, vcc_lo
	v_cndmask_b32_e64 v5, 0, 1, s1
	v_cmp_ne_u32_e64 s1, v13, v14
	v_add_co_ci_u32_e32 v15, vcc_lo, 0, v15, vcc_lo
	v_cmp_gt_i32_e32 vcc_lo, 1, v20
	v_and_or_b32 v5, 0xffe, v16, v5
	v_cndmask_b32_e64 v13, 0, 1, s1
	v_lshl_or_b32 v16, v20, 12, v9
	v_sub_nc_u32_e32 v14, 0x3f1, v18
	v_cmp_eq_u32_e64 s1, 0x40f, v17
	v_add_nc_u32_e32 v18, 0xfffffc10, v18
	v_or_b32_e32 v13, v19, v13
	v_or_b32_e32 v19, 0x1000, v5
	v_med3_i32 v14, v14, 0, 13
	v_cndmask_b32_e32 v13, v16, v13, vcc_lo
	v_cmp_ne_u32_e32 vcc_lo, 0, v7
	v_mul_f64 v[11:12], v[11:12], s[6:7]
	v_lshrrev_b32_e32 v16, v14, v19
	v_and_b32_e32 v23, 7, v13
	v_cndmask_b32_e64 v7, 0, 1, vcc_lo
	v_cmp_gt_i32_e32 vcc_lo, 31, v17
	v_lshlrev_b32_e32 v14, v14, v16
	v_lshrrev_b32_e32 v17, 2, v13
	v_cmp_eq_u32_e64 s0, 3, v23
	v_lshl_or_b32 v7, v7, 9, 0x7c00
	v_cndmask_b32_e32 v15, 0x7c00, v15, vcc_lo
	v_cmp_lt_i32_e32 vcc_lo, 5, v23
	v_cndmask_b32_e64 v15, v15, v7, s1
	v_cmp_ne_u32_e64 s1, v14, v19
	s_or_b32 vcc_lo, s0, vcc_lo
	v_cndmask_b32_e64 v19, 0, 1, s1
	v_and_or_b32 v11, 0x1ff, v12, v11
	v_or_b32_e32 v16, v16, v19
	v_lshrrev_b32_e32 v19, 16, v8
	v_and_or_b32 v15, 0x8000, v19, v15
	s_waitcnt vmcnt(0)
	v_mul_f16_sdwa v22, v24, v21 dst_sel:DWORD dst_unused:UNUSED_PAD src0_sel:WORD_1 src1_sel:DWORD
	v_mov_b32_e32 v25, v24
	v_fmac_f16_e32 v22, v24, v1
	v_mul_f16_sdwa v1, v25, v1 dst_sel:DWORD dst_unused:UNUSED_PAD src0_sel:WORD_1 src1_sel:DWORD
	v_cvt_f32_f16_e32 v7, v22
	v_fma_f16 v1, v25, v21, -v1
	v_cvt_f64_f32_e32 v[13:14], v7
	v_add_co_ci_u32_e32 v7, vcc_lo, 0, v17, vcc_lo
	v_cmp_ne_u32_e32 vcc_lo, 0, v9
	v_lshl_or_b32 v17, v18, 12, v5
	v_cvt_f32_f16_e32 v1, v1
	v_cndmask_b32_e64 v8, 0, 1, vcc_lo
	v_cmp_gt_i32_e32 vcc_lo, 1, v18
	v_lshl_or_b32 v23, v8, 9, 0x7c00
	v_cndmask_b32_e32 v9, v17, v16, vcc_lo
	v_cmp_ne_u32_e32 vcc_lo, 0, v11
	v_lshrrev_b32_e32 v16, 8, v12
	v_bfe_u32 v17, v12, 20, 11
	v_lshrrev_b32_e32 v12, 16, v12
	v_and_b32_e32 v24, 7, v9
	v_cndmask_b32_e64 v11, 0, 1, vcc_lo
	v_cmp_gt_i32_e32 vcc_lo, 31, v20
	v_lshrrev_b32_e32 v9, 2, v9
	v_cmp_eq_u32_e64 s0, 3, v24
	v_and_or_b32 v11, 0xffe, v16, v11
	v_cndmask_b32_e32 v22, 0x7c00, v7, vcc_lo
	v_cmp_eq_u32_e32 vcc_lo, 0x40f, v20
	v_mul_f64 v[7:8], v[13:14], s[6:7]
	v_sub_nc_u32_e32 v16, 0x3f1, v17
	v_or_b32_e32 v14, 0x1000, v11
	v_cndmask_b32_e32 v13, v22, v23, vcc_lo
	buffer_load_dword v22, off, s[20:23], 0 ; 4-byte Folded Reload
	v_med3_i32 v16, v16, 0, 13
	v_cmp_lt_i32_e32 vcc_lo, 5, v24
	v_and_or_b32 v10, 0x8000, v10, v13
	v_and_b32_e32 v13, 0xffff, v15
	v_lshrrev_b32_e32 v19, v16, v14
	s_or_b32 vcc_lo, s0, vcc_lo
	v_add_co_ci_u32_e32 v9, vcc_lo, 0, v9, vcc_lo
	v_lshlrev_b32_e32 v15, v16, v19
	v_cmp_ne_u32_e32 vcc_lo, 0, v5
	v_lshl_or_b32 v16, v10, 16, v13
	v_cndmask_b32_e64 v5, 0, 1, vcc_lo
	v_cmp_ne_u32_e32 vcc_lo, v15, v14
	v_and_or_b32 v7, 0x1ff, v8, v7
	v_add_nc_u32_e32 v15, 0xfffffc10, v17
	v_lshrrev_b32_e32 v17, 8, v8
	v_bfe_u32 v20, v8, 20, 11
	v_cndmask_b32_e64 v13, 0, 1, vcc_lo
	v_cmp_gt_i32_e32 vcc_lo, 31, v18
	v_lshl_or_b32 v5, v5, 9, 0x7c00
	v_lshrrev_b32_e32 v8, 16, v8
	v_or_b32_e32 v13, v19, v13
	v_cndmask_b32_e32 v14, 0x7c00, v9, vcc_lo
	v_cmp_ne_u32_e32 vcc_lo, 0, v7
	v_lshrrev_b32_e32 v7, 16, v4
	v_cvt_f64_f32_e32 v[9:10], v1
	v_lshl_or_b32 v19, v15, 12, v11
	v_cndmask_b32_e64 v1, 0, 1, vcc_lo
	v_cmp_gt_i32_e32 vcc_lo, 1, v15
	v_and_or_b32 v1, 0xffe, v17, v1
	v_sub_nc_u32_e32 v17, 0x3f1, v20
	v_cndmask_b32_e32 v19, v19, v13, vcc_lo
	v_cmp_eq_u32_e32 vcc_lo, 0x40f, v18
	v_med3_i32 v17, v17, 0, 13
	v_and_b32_e32 v23, 7, v19
	v_cndmask_b32_e32 v18, v14, v5, vcc_lo
	v_cmp_lt_i32_e32 vcc_lo, 5, v23
	v_cmp_eq_u32_e64 s0, 3, v23
	v_mul_f64 v[9:10], v[9:10], s[6:7]
	s_or_b32 vcc_lo, s0, vcc_lo
	v_and_or_b32 v9, 0x1ff, v10, v9
	s_waitcnt vmcnt(0)
	v_mul_f16_sdwa v21, v22, v7 dst_sel:DWORD dst_unused:UNUSED_PAD src0_sel:WORD_1 src1_sel:DWORD
	v_mov_b32_e32 v24, v22
	v_fmac_f16_e32 v21, v22, v4
	v_or_b32_e32 v22, 0x1000, v1
	v_mul_f16_sdwa v4, v24, v4 dst_sel:DWORD dst_unused:UNUSED_PAD src0_sel:WORD_1 src1_sel:DWORD
	v_cvt_f32_f16_e32 v13, v21
	v_lshrrev_b32_e32 v5, v17, v22
	v_lshrrev_b32_e32 v21, 16, v6
	v_lshrrev_b32_e32 v6, 2, v19
	v_fma_f16 v4, v24, v7, -v4
	v_cvt_f64_f32_e32 v[13:14], v13
	v_lshlrev_b32_e32 v17, v17, v5
	v_and_or_b32 v18, 0x8000, v21, v18
	v_add_co_ci_u32_e32 v6, vcc_lo, 0, v6, vcc_lo
	v_cvt_f32_f16_e32 v4, v4
	v_cmp_ne_u32_e32 vcc_lo, v17, v22
	v_add_nc_u32_e32 v17, 0xfffffc10, v20
	v_and_b32_e32 v18, 0xffff, v18
	v_cndmask_b32_e64 v7, 0, 1, vcc_lo
	v_cmp_ne_u32_e32 vcc_lo, 0, v11
	v_lshl_or_b32 v20, v17, 12, v1
	v_or_b32_e32 v19, v5, v7
	v_cndmask_b32_e64 v11, 0, 1, vcc_lo
	v_cmp_gt_i32_e32 vcc_lo, 31, v15
	v_cvt_f64_f32_e32 v[4:5], v4
	v_lshl_or_b32 v11, v11, 9, 0x7c00
	v_cndmask_b32_e32 v22, 0x7c00, v6, vcc_lo
	v_mul_f64 v[6:7], v[13:14], s[6:7]
	v_add_co_u32 v13, vcc_lo, v2, s3
	v_add_co_ci_u32_e32 v14, vcc_lo, s2, v3, vcc_lo
	v_cmp_gt_i32_e32 vcc_lo, 1, v17
	v_cndmask_b32_e32 v19, v20, v19, vcc_lo
	v_cmp_eq_u32_e32 vcc_lo, 0x40f, v15
	v_lshrrev_b32_e32 v15, 8, v10
	v_bfe_u32 v20, v10, 20, 11
	v_lshrrev_b32_e32 v10, 16, v10
	v_cndmask_b32_e32 v11, v22, v11, vcc_lo
	v_cmp_ne_u32_e32 vcc_lo, 0, v9
	v_and_b32_e32 v22, 7, v19
	v_mul_f64 v[4:5], v[4:5], s[6:7]
	v_lshrrev_b32_e32 v19, 2, v19
	v_and_or_b32 v11, 0x8000, v12, v11
	v_cndmask_b32_e64 v9, 0, 1, vcc_lo
	v_cmp_lt_i32_e32 vcc_lo, 5, v22
	v_cmp_eq_u32_e64 s0, 3, v22
	v_and_or_b32 v6, 0x1ff, v7, v6
	v_lshrrev_b32_e32 v22, 8, v7
	v_and_or_b32 v9, 0xffe, v15, v9
	v_sub_nc_u32_e32 v15, 0x3f1, v20
	s_or_b32 vcc_lo, s0, vcc_lo
	v_bfe_u32 v23, v7, 20, 11
	v_add_co_ci_u32_e32 v19, vcc_lo, 0, v19, vcc_lo
	v_or_b32_e32 v12, 0x1000, v9
	v_med3_i32 v15, v15, 0, 13
	v_cmp_ne_u32_e32 vcc_lo, 0, v6
	v_lshrrev_b32_e32 v7, 16, v7
	v_lshl_or_b32 v11, v11, 16, v18
	v_lshrrev_b32_e32 v21, v15, v12
	v_cndmask_b32_e64 v6, 0, 1, vcc_lo
	v_cmp_ne_u32_e32 vcc_lo, 0, v1
	v_and_or_b32 v4, 0x1ff, v5, v4
	v_lshrrev_b32_e32 v24, 8, v5
	v_lshlrev_b32_e32 v15, v15, v21
	v_and_or_b32 v6, 0xffe, v22, v6
	v_cndmask_b32_e64 v1, 0, 1, vcc_lo
	v_sub_nc_u32_e32 v22, 0x3f1, v23
	v_bfe_u32 v25, v5, 20, 11
	v_cmp_ne_u32_e32 vcc_lo, v15, v12
	v_add_nc_u32_e32 v15, 0xfffffc10, v20
	v_or_b32_e32 v20, 0x1000, v6
	v_med3_i32 v22, v22, 0, 13
	v_lshl_or_b32 v1, v1, 9, 0x7c00
	v_cndmask_b32_e64 v12, 0, 1, vcc_lo
	v_cmp_gt_i32_e32 vcc_lo, 31, v17
	v_lshrrev_b32_e32 v26, v22, v20
	v_or_b32_e32 v12, v21, v12
	v_cndmask_b32_e32 v19, 0x7c00, v19, vcc_lo
	v_cmp_ne_u32_e32 vcc_lo, 0, v4
	v_lshl_or_b32 v21, v15, 12, v9
	v_cndmask_b32_e64 v4, 0, 1, vcc_lo
	v_cmp_gt_i32_e32 vcc_lo, 1, v15
	v_and_or_b32 v4, 0xffe, v24, v4
	v_sub_nc_u32_e32 v24, 0x3f1, v25
	v_cndmask_b32_e32 v12, v21, v12, vcc_lo
	v_lshlrev_b32_e32 v21, v22, v26
	v_cmp_eq_u32_e32 vcc_lo, 0x40f, v17
	v_or_b32_e32 v22, 0x1000, v4
	v_med3_i32 v24, v24, 0, 13
	v_and_b32_e32 v27, 7, v12
	v_lshrrev_b32_e32 v12, 2, v12
	v_cndmask_b32_e32 v1, v19, v1, vcc_lo
	v_cmp_ne_u32_e32 vcc_lo, v21, v20
	v_add_nc_u32_e32 v19, 0xfffffc10, v23
	v_lshrrev_b32_e32 v20, v24, v22
	v_cmp_eq_u32_e64 s0, 3, v27
	v_and_or_b32 v1, 0x8000, v8, v1
	v_cndmask_b32_e64 v17, 0, 1, vcc_lo
	v_lshl_or_b32 v21, v19, 12, v6
	v_lshlrev_b32_e32 v23, v24, v20
	v_cmp_gt_i32_e64 s1, 1, v19
	v_cmp_lt_i32_e32 vcc_lo, 5, v27
	v_or_b32_e32 v17, v26, v17
	v_and_b32_e32 v1, 0xffff, v1
	s_or_b32 vcc_lo, s0, vcc_lo
	v_cndmask_b32_e64 v17, v21, v17, s1
	v_cmp_ne_u32_e64 s1, v23, v22
	v_add_nc_u32_e32 v22, 0xfffffc10, v25
	v_add_co_ci_u32_e32 v12, vcc_lo, 0, v12, vcc_lo
	v_and_b32_e32 v23, 7, v17
	v_cndmask_b32_e64 v21, 0, 1, s1
	v_cmp_ne_u32_e32 vcc_lo, 0, v9
	v_cmp_gt_i32_e64 s0, 1, v22
	v_lshrrev_b32_e32 v17, 2, v17
	v_cmp_gt_i32_e64 s1, 31, v15
	v_or_b32_e32 v20, v20, v21
	v_lshl_or_b32 v21, v22, 12, v4
	v_cndmask_b32_e64 v9, 0, 1, vcc_lo
	v_cmp_lt_i32_e32 vcc_lo, 5, v23
	v_cndmask_b32_e64 v12, 0x7c00, v12, s1
	v_cmp_eq_u32_e64 s1, 0x40f, v15
	v_cndmask_b32_e64 v8, v21, v20, s0
	v_cmp_eq_u32_e64 s0, 3, v23
	v_lshl_or_b32 v9, v9, 9, 0x7c00
	v_and_b32_e32 v20, 7, v8
	s_or_b32 vcc_lo, s0, vcc_lo
	v_lshrrev_b32_e32 v8, 2, v8
	v_add_co_ci_u32_e32 v17, vcc_lo, 0, v17, vcc_lo
	v_cmp_ne_u32_e32 vcc_lo, 0, v6
	v_cmp_eq_u32_e64 s0, 3, v20
	v_cndmask_b32_e64 v9, v12, v9, s1
	v_cmp_gt_i32_e64 s1, 31, v19
	v_cndmask_b32_e64 v6, 0, 1, vcc_lo
	v_cmp_lt_i32_e32 vcc_lo, 5, v20
	v_and_or_b32 v9, 0x8000, v10, v9
	v_cndmask_b32_e64 v12, 0x7c00, v17, s1
	v_lshl_or_b32 v6, v6, 9, 0x7c00
	s_or_b32 vcc_lo, s0, vcc_lo
	v_lshl_or_b32 v1, v9, 16, v1
	v_add_co_ci_u32_e32 v8, vcc_lo, 0, v8, vcc_lo
	v_cmp_ne_u32_e32 vcc_lo, 0, v4
	v_cndmask_b32_e64 v4, 0, 1, vcc_lo
	v_cmp_eq_u32_e32 vcc_lo, 0x40f, v19
	v_lshl_or_b32 v4, v4, 9, 0x7c00
	v_cndmask_b32_e32 v6, v12, v6, vcc_lo
	v_cmp_gt_i32_e32 vcc_lo, 31, v22
	v_and_or_b32 v6, 0x8000, v7, v6
	v_cndmask_b32_e32 v8, 0x7c00, v8, vcc_lo
	v_cmp_eq_u32_e32 vcc_lo, 0x40f, v22
	v_and_b32_e32 v9, 0xffff, v6
	v_cndmask_b32_e32 v7, v8, v4, vcc_lo
	v_lshrrev_b32_e32 v8, 16, v5
	v_add_co_u32 v4, vcc_lo, v13, s5
	v_add_co_ci_u32_e32 v5, vcc_lo, s4, v14, vcc_lo
	v_and_or_b32 v8, 0x8000, v8, v7
	v_add_co_u32 v6, vcc_lo, v4, s3
	v_add_co_ci_u32_e32 v7, vcc_lo, s2, v5, vcc_lo
	v_lshl_or_b32 v10, v8, 16, v9
	v_add_co_u32 v8, vcc_lo, v6, s3
	v_add_co_ci_u32_e32 v9, vcc_lo, s2, v7, vcc_lo
	global_store_dword v[2:3], v0, off
	global_store_dword v[13:14], v16, off
	;; [unrolled: 1-line block ×5, first 2 shown]
.LBB0_2:
	s_endpgm
	.section	.rodata,"a",@progbits
	.p2align	6, 0x0
	.amdhsa_kernel bluestein_single_back_len3750_dim1_half_op_CI_CI
		.amdhsa_group_segment_fixed_size 15000
		.amdhsa_private_segment_fixed_size 120
		.amdhsa_kernarg_size 104
		.amdhsa_user_sgpr_count 6
		.amdhsa_user_sgpr_private_segment_buffer 1
		.amdhsa_user_sgpr_dispatch_ptr 0
		.amdhsa_user_sgpr_queue_ptr 0
		.amdhsa_user_sgpr_kernarg_segment_ptr 1
		.amdhsa_user_sgpr_dispatch_id 0
		.amdhsa_user_sgpr_flat_scratch_init 0
		.amdhsa_user_sgpr_private_segment_size 0
		.amdhsa_wavefront_size32 1
		.amdhsa_uses_dynamic_stack 0
		.amdhsa_system_sgpr_private_segment_wavefront_offset 1
		.amdhsa_system_sgpr_workgroup_id_x 1
		.amdhsa_system_sgpr_workgroup_id_y 0
		.amdhsa_system_sgpr_workgroup_id_z 0
		.amdhsa_system_sgpr_workgroup_info 0
		.amdhsa_system_vgpr_workitem_id 0
		.amdhsa_next_free_vgpr 256
		.amdhsa_next_free_sgpr 24
		.amdhsa_reserve_vcc 1
		.amdhsa_reserve_flat_scratch 0
		.amdhsa_float_round_mode_32 0
		.amdhsa_float_round_mode_16_64 0
		.amdhsa_float_denorm_mode_32 3
		.amdhsa_float_denorm_mode_16_64 3
		.amdhsa_dx10_clamp 1
		.amdhsa_ieee_mode 1
		.amdhsa_fp16_overflow 0
		.amdhsa_workgroup_processor_mode 1
		.amdhsa_memory_ordered 1
		.amdhsa_forward_progress 0
		.amdhsa_shared_vgpr_count 0
		.amdhsa_exception_fp_ieee_invalid_op 0
		.amdhsa_exception_fp_denorm_src 0
		.amdhsa_exception_fp_ieee_div_zero 0
		.amdhsa_exception_fp_ieee_overflow 0
		.amdhsa_exception_fp_ieee_underflow 0
		.amdhsa_exception_fp_ieee_inexact 0
		.amdhsa_exception_int_div_zero 0
	.end_amdhsa_kernel
	.text
.Lfunc_end0:
	.size	bluestein_single_back_len3750_dim1_half_op_CI_CI, .Lfunc_end0-bluestein_single_back_len3750_dim1_half_op_CI_CI
                                        ; -- End function
	.section	.AMDGPU.csdata,"",@progbits
; Kernel info:
; codeLenInByte = 54988
; NumSgprs: 26
; NumVgprs: 256
; ScratchSize: 120
; MemoryBound: 0
; FloatMode: 240
; IeeeMode: 1
; LDSByteSize: 15000 bytes/workgroup (compile time only)
; SGPRBlocks: 3
; VGPRBlocks: 31
; NumSGPRsForWavesPerEU: 26
; NumVGPRsForWavesPerEU: 256
; Occupancy: 4
; WaveLimiterHint : 1
; COMPUTE_PGM_RSRC2:SCRATCH_EN: 1
; COMPUTE_PGM_RSRC2:USER_SGPR: 6
; COMPUTE_PGM_RSRC2:TRAP_HANDLER: 0
; COMPUTE_PGM_RSRC2:TGID_X_EN: 1
; COMPUTE_PGM_RSRC2:TGID_Y_EN: 0
; COMPUTE_PGM_RSRC2:TGID_Z_EN: 0
; COMPUTE_PGM_RSRC2:TIDIG_COMP_CNT: 0
	.text
	.p2alignl 6, 3214868480
	.fill 48, 4, 3214868480
	.type	__hip_cuid_b0ecc8916032ced,@object ; @__hip_cuid_b0ecc8916032ced
	.section	.bss,"aw",@nobits
	.globl	__hip_cuid_b0ecc8916032ced
__hip_cuid_b0ecc8916032ced:
	.byte	0                               ; 0x0
	.size	__hip_cuid_b0ecc8916032ced, 1

	.ident	"AMD clang version 19.0.0git (https://github.com/RadeonOpenCompute/llvm-project roc-6.4.0 25133 c7fe45cf4b819c5991fe208aaa96edf142730f1d)"
	.section	".note.GNU-stack","",@progbits
	.addrsig
	.addrsig_sym __hip_cuid_b0ecc8916032ced
	.amdgpu_metadata
---
amdhsa.kernels:
  - .args:
      - .actual_access:  read_only
        .address_space:  global
        .offset:         0
        .size:           8
        .value_kind:     global_buffer
      - .actual_access:  read_only
        .address_space:  global
        .offset:         8
        .size:           8
        .value_kind:     global_buffer
      - .actual_access:  read_only
        .address_space:  global
        .offset:         16
        .size:           8
        .value_kind:     global_buffer
      - .actual_access:  read_only
        .address_space:  global
        .offset:         24
        .size:           8
        .value_kind:     global_buffer
      - .actual_access:  read_only
        .address_space:  global
        .offset:         32
        .size:           8
        .value_kind:     global_buffer
      - .offset:         40
        .size:           8
        .value_kind:     by_value
      - .address_space:  global
        .offset:         48
        .size:           8
        .value_kind:     global_buffer
      - .address_space:  global
        .offset:         56
        .size:           8
        .value_kind:     global_buffer
      - .address_space:  global
        .offset:         64
        .size:           8
        .value_kind:     global_buffer
      - .address_space:  global
        .offset:         72
        .size:           8
        .value_kind:     global_buffer
      - .offset:         80
        .size:           4
        .value_kind:     by_value
      - .address_space:  global
        .offset:         88
        .size:           8
        .value_kind:     global_buffer
      - .address_space:  global
        .offset:         96
        .size:           8
        .value_kind:     global_buffer
    .group_segment_fixed_size: 15000
    .kernarg_segment_align: 8
    .kernarg_segment_size: 104
    .language:       OpenCL C
    .language_version:
      - 2
      - 0
    .max_flat_workgroup_size: 125
    .name:           bluestein_single_back_len3750_dim1_half_op_CI_CI
    .private_segment_fixed_size: 120
    .sgpr_count:     26
    .sgpr_spill_count: 0
    .symbol:         bluestein_single_back_len3750_dim1_half_op_CI_CI.kd
    .uniform_work_group_size: 1
    .uses_dynamic_stack: false
    .vgpr_count:     256
    .vgpr_spill_count: 29
    .wavefront_size: 32
    .workgroup_processor_mode: 1
amdhsa.target:   amdgcn-amd-amdhsa--gfx1030
amdhsa.version:
  - 1
  - 2
...

	.end_amdgpu_metadata
